;; amdgpu-corpus repo=ROCm/rocFFT kind=compiled arch=gfx906 opt=O3
	.text
	.amdgcn_target "amdgcn-amd-amdhsa--gfx906"
	.amdhsa_code_object_version 6
	.protected	bluestein_single_fwd_len3200_dim1_half_op_CI_CI ; -- Begin function bluestein_single_fwd_len3200_dim1_half_op_CI_CI
	.globl	bluestein_single_fwd_len3200_dim1_half_op_CI_CI
	.p2align	8
	.type	bluestein_single_fwd_len3200_dim1_half_op_CI_CI,@function
bluestein_single_fwd_len3200_dim1_half_op_CI_CI: ; @bluestein_single_fwd_len3200_dim1_half_op_CI_CI
; %bb.0:
	s_load_dwordx4 s[16:19], s[4:5], 0x28
	v_mul_u32_u24_e32 v1, 0x19a, v0
	v_add_u32_sdwa v46, s6, v1 dst_sel:DWORD dst_unused:UNUSED_PAD src0_sel:DWORD src1_sel:WORD_1
	v_mov_b32_e32 v47, 0
	s_waitcnt lgkmcnt(0)
	v_cmp_gt_u64_e32 vcc, s[16:17], v[46:47]
	s_and_saveexec_b64 s[0:1], vcc
	s_cbranch_execz .LBB0_2
; %bb.1:
	s_load_dwordx4 s[8:11], s[4:5], 0x18
	s_load_dwordx4 s[0:3], s[4:5], 0x0
	s_movk_i32 s20, 0xa0
	v_mul_lo_u16_sdwa v1, v1, s20 dst_sel:DWORD dst_unused:UNUSED_PAD src0_sel:WORD_1 src1_sel:DWORD
	v_sub_u16_e32 v74, v0, v1
	s_waitcnt lgkmcnt(0)
	s_load_dwordx4 s[12:15], s[8:9], 0x0
	v_lshlrev_b32_e32 v76, 2, v74
	global_load_dword v75, v76, s[0:1]
	global_load_dword v73, v76, s[0:1] offset:1280
	v_or_b32_e32 v65, 0x500, v74
	s_waitcnt lgkmcnt(0)
	v_mad_u64_u32 v[0:1], s[6:7], s14, v46, 0
	v_mad_u64_u32 v[2:3], s[6:7], s12, v74, 0
	s_mul_i32 s8, s13, 0x500
	s_mul_hi_u32 s14, s12, 0x500
	v_mad_u64_u32 v[4:5], s[6:7], s15, v46, v[1:2]
	s_mul_i32 s15, s12, 0x500
	v_lshlrev_b32_e32 v82, 2, v65
	v_mad_u64_u32 v[5:6], s[6:7], s13, v74, v[3:4]
	v_mov_b32_e32 v1, v4
	v_lshlrev_b64 v[0:1], 2, v[0:1]
	v_mov_b32_e32 v3, v5
	v_mov_b32_e32 v4, s19
	v_add_co_u32_e32 v7, vcc, s18, v0
	v_addc_co_u32_e32 v8, vcc, v4, v1, vcc
	v_lshlrev_b64 v[0:1], 2, v[2:3]
	s_add_u32 s6, s0, 0x3200
	v_add_co_u32_e32 v0, vcc, v7, v0
	v_addc_co_u32_e32 v1, vcc, v8, v1, vcc
	s_addc_u32 s7, s1, 0
	global_load_dword v6, v[0:1], off
	s_add_i32 s14, s14, s8
	v_mov_b32_e32 v2, s14
	v_add_co_u32_e32 v0, vcc, s15, v0
	v_addc_co_u32_e32 v1, vcc, v1, v2, vcc
	global_load_dword v10, v[0:1], off
	v_mov_b32_e32 v3, s14
	v_add_co_u32_e32 v2, vcc, s15, v0
	v_addc_co_u32_e32 v3, vcc, v1, v3, vcc
	v_mad_u64_u32 v[0:1], s[8:9], s12, v65, 0
	global_load_dword v11, v[2:3], off
	global_load_dword v71, v76, s[0:1] offset:2560
	v_mov_b32_e32 v12, s14
	v_mad_u64_u32 v[4:5], s[8:9], s13, v65, v[1:2]
	v_add_co_u32_e32 v2, vcc, s15, v2
	v_addc_co_u32_e32 v3, vcc, v3, v12, vcc
	v_mov_b32_e32 v1, v4
	global_load_dword v5, v[2:3], off
	global_load_dword v69, v76, s[0:1] offset:3840
	v_lshlrev_b64 v[0:1], 2, v[0:1]
	global_load_dword v67, v82, s[0:1]
	v_add_co_u32_e32 v0, vcc, v7, v0
	v_addc_co_u32_e32 v1, vcc, v8, v1, vcc
	global_load_dword v4, v[0:1], off
	v_mov_b32_e32 v56, 0xa00
	v_mad_u64_u32 v[0:1], s[8:9], s12, v56, v[2:3]
	v_mov_b32_e32 v9, s1
	v_add_co_u32_e32 v12, vcc, s0, v76
	v_addc_co_u32_e32 v9, vcc, 0, v9, vcc
	s_mul_i32 s18, s13, 0xa00
	s_movk_i32 s16, 0x1000
	v_add_u32_e32 v1, s18, v1
	v_add_co_u32_e32 v2, vcc, s16, v12
	global_load_dword v13, v[0:1], off
	v_addc_co_u32_e32 v3, vcc, 0, v9, vcc
	global_load_dword v64, v[2:3], off offset:2304
	v_mov_b32_e32 v14, s14
	v_add_co_u32_e32 v0, vcc, s15, v0
	v_addc_co_u32_e32 v1, vcc, v1, v14, vcc
	global_load_dword v14, v[0:1], off
	global_load_dword v62, v[2:3], off offset:3584
	s_load_dwordx4 s[8:11], s[10:11], 0x0
	global_load_dword v54, v76, s[0:1] offset:3200
	global_load_dword v55, v76, s[0:1] offset:1920
	;; [unrolled: 1-line block ×3, first 2 shown]
	v_mov_b32_e32 v15, s14
	v_add_co_u32_e32 v0, vcc, s15, v0
	v_addc_co_u32_e32 v1, vcc, v1, v15, vcc
	global_load_dword v15, v[0:1], off
	s_movk_i32 s17, 0x2000
	v_or_b32_e32 v60, 0xa00, v74
	v_mad_u64_u32 v[0:1], s[22:23], s12, v56, v[0:1]
	v_lshlrev_b32_e32 v84, 2, v60
	v_mov_b32_e32 v58, 0xffffd580
	v_add_u32_e32 v1, s18, v1
	v_add_u32_e32 v79, 0xa00, v76
	;; [unrolled: 1-line block ×10, first 2 shown]
	s_movk_i32 s18, 0xcd
	s_waitcnt vmcnt(15)
	v_lshrrev_b32_e32 v16, 16, v6
	v_mul_f16_sdwa v17, v75, v6 dst_sel:DWORD dst_unused:UNUSED_PAD src0_sel:WORD_1 src1_sel:DWORD
	v_mul_f16_sdwa v18, v75, v16 dst_sel:DWORD dst_unused:UNUSED_PAD src0_sel:WORD_1 src1_sel:DWORD
	v_fma_f16 v16, v75, v16, -v17
	v_fma_f16 v6, v75, v6, v18
	v_pack_b32_f16 v16, v6, v16
	v_mov_b32_e32 v104, s3
	s_waitcnt vmcnt(14)
	v_lshrrev_b32_e32 v6, 16, v10
	v_mul_f16_sdwa v17, v73, v6 dst_sel:DWORD dst_unused:UNUSED_PAD src0_sel:WORD_1 src1_sel:DWORD
	v_fma_f16 v17, v73, v10, v17
	v_mul_f16_sdwa v10, v73, v10 dst_sel:DWORD dst_unused:UNUSED_PAD src0_sel:WORD_1 src1_sel:DWORD
	v_fma_f16 v6, v73, v6, -v10
	v_pack_b32_f16 v6, v17, v6
	ds_write_b32 v76, v6 offset:1280
	s_waitcnt vmcnt(13)
	v_lshrrev_b32_e32 v6, 16, v11
	s_waitcnt vmcnt(12)
	v_mul_f16_sdwa v10, v71, v6 dst_sel:DWORD dst_unused:UNUSED_PAD src0_sel:WORD_1 src1_sel:DWORD
	v_fma_f16 v10, v71, v11, v10
	v_mul_f16_sdwa v11, v71, v11 dst_sel:DWORD dst_unused:UNUSED_PAD src0_sel:WORD_1 src1_sel:DWORD
	v_fma_f16 v6, v71, v6, -v11
	v_pack_b32_f16 v6, v10, v6
	ds_write_b32 v76, v6 offset:2560
	v_mov_b32_e32 v11, s14
	s_load_dwordx2 s[4:5], s[4:5], 0x38
	s_waitcnt vmcnt(11)
	v_lshrrev_b32_e32 v6, 16, v5
	s_waitcnt vmcnt(10)
	v_mul_f16_sdwa v10, v69, v6 dst_sel:DWORD dst_unused:UNUSED_PAD src0_sel:WORD_1 src1_sel:DWORD
	v_fma_f16 v10, v69, v5, v10
	v_mul_f16_sdwa v5, v69, v5 dst_sel:DWORD dst_unused:UNUSED_PAD src0_sel:WORD_1 src1_sel:DWORD
	v_fma_f16 v5, v69, v6, -v5
	v_pack_b32_f16 v5, v10, v5
	ds_write_b32 v76, v5 offset:3840
	global_load_dword v53, v[2:3], off offset:384
	global_load_dword v50, v[2:3], off offset:2944
	;; [unrolled: 1-line block ×3, first 2 shown]
	s_waitcnt vmcnt(11)
	v_lshrrev_b32_e32 v5, 16, v4
	v_mul_f16_sdwa v2, v67, v5 dst_sel:DWORD dst_unused:UNUSED_PAD src0_sel:WORD_1 src1_sel:DWORD
	v_fma_f16 v6, v67, v4, v2
	v_add_co_u32_e32 v2, vcc, s17, v12
	v_addc_co_u32_e32 v3, vcc, 0, v9, vcc
	global_load_dword v63, v[2:3], off offset:768
	v_mul_f16_sdwa v4, v67, v4 dst_sel:DWORD dst_unused:UNUSED_PAD src0_sel:WORD_1 src1_sel:DWORD
	v_fma_f16 v4, v67, v5, -v4
	v_pack_b32_f16 v4, v6, v4
	ds_write_b32 v76, v4 offset:5120
	global_load_dword v61, v84, s[0:1]
	v_mov_b32_e32 v12, s14
	s_waitcnt vmcnt(12)
	v_lshrrev_b32_e32 v4, 16, v13
	s_waitcnt vmcnt(11)
	v_mul_f16_sdwa v5, v64, v4 dst_sel:DWORD dst_unused:UNUSED_PAD src0_sel:WORD_1 src1_sel:DWORD
	v_fma_f16 v6, v64, v13, v5
	v_mul_f16_sdwa v5, v64, v13 dst_sel:DWORD dst_unused:UNUSED_PAD src0_sel:WORD_1 src1_sel:DWORD
	v_fma_f16 v9, v64, v4, -v5
	v_mad_u64_u32 v[4:5], s[22:23], s12, v60, 0
	v_pack_b32_f16 v6, v6, v9
	ds_write_b32 v76, v6 offset:6400
	v_mad_u64_u32 v[5:6], s[22:23], s13, v60, v[5:6]
	s_waitcnt vmcnt(10)
	v_lshrrev_b32_e32 v9, 16, v14
	s_waitcnt vmcnt(9)
	v_mul_f16_sdwa v6, v62, v9 dst_sel:DWORD dst_unused:UNUSED_PAD src0_sel:WORD_1 src1_sel:DWORD
	v_lshlrev_b64 v[4:5], 2, v[4:5]
	v_mul_f16_sdwa v10, v62, v14 dst_sel:DWORD dst_unused:UNUSED_PAD src0_sel:WORD_1 src1_sel:DWORD
	v_add_co_u32_e32 v4, vcc, v7, v4
	v_addc_co_u32_e32 v5, vcc, v8, v5, vcc
	global_load_dword v4, v[4:5], off
	v_fma_f16 v6, v62, v14, v6
	v_fma_f16 v5, v62, v9, -v10
	v_pack_b32_f16 v5, v6, v5
	global_load_dword v6, v[0:1], off
	global_load_dword v59, v[2:3], off offset:3328
	v_mad_u64_u32 v[0:1], s[0:1], s12, v58, v[0:1]
	s_mul_i32 s0, s13, 0xffffd580
	s_sub_i32 s0, s0, s12
	v_add_u32_e32 v1, s0, v1
	ds_write_b32 v76, v5 offset:7680
	global_load_dword v5, v[0:1], off
	v_mov_b32_e32 v8, s14
	v_add_co_u32_e32 v0, vcc, s15, v0
	v_addc_co_u32_e32 v1, vcc, v1, v8, vcc
	global_load_dword v8, v[0:1], off
	v_mov_b32_e32 v9, s14
	v_add_co_u32_e32 v0, vcc, s15, v0
	v_addc_co_u32_e32 v1, vcc, v1, v9, vcc
	;; [unrolled: 4-line block ×3, first 2 shown]
	global_load_dword v10, v[0:1], off
	v_add_co_u32_e32 v0, vcc, s15, v0
	v_addc_co_u32_e32 v1, vcc, v1, v11, vcc
	global_load_dword v11, v[0:1], off
	v_add_co_u32_e32 v0, vcc, s15, v0
	v_addc_co_u32_e32 v1, vcc, v1, v12, vcc
	global_load_dword v12, v[0:1], off
	global_load_dword v49, v[2:3], off offset:1408
	global_load_dword v47, v[2:3], off offset:3968
	;; [unrolled: 1-line block ×4, first 2 shown]
	v_mov_b32_e32 v3, s14
	v_add_co_u32_e32 v0, vcc, s15, v0
	v_addc_co_u32_e32 v1, vcc, v1, v3, vcc
	global_load_dword v3, v[0:1], off
	v_mov_b32_e32 v13, s14
	v_add_co_u32_e32 v0, vcc, s15, v0
	v_addc_co_u32_e32 v1, vcc, v1, v13, vcc
	s_waitcnt vmcnt(19)
	v_lshrrev_b32_e32 v7, 16, v15
	global_load_dword v13, v[0:1], off
	s_waitcnt vmcnt(16)
	v_mul_f16_sdwa v2, v63, v7 dst_sel:DWORD dst_unused:UNUSED_PAD src0_sel:WORD_1 src1_sel:DWORD
	v_fma_f16 v2, v63, v15, v2
	v_mul_f16_sdwa v14, v63, v15 dst_sel:DWORD dst_unused:UNUSED_PAD src0_sel:WORD_1 src1_sel:DWORD
	v_mov_b32_e32 v15, s14
	v_add_co_u32_e32 v0, vcc, s15, v0
	v_addc_co_u32_e32 v1, vcc, v1, v15, vcc
	global_load_dword v15, v[0:1], off
	v_fma_f16 v7, v63, v7, -v14
	v_mov_b32_e32 v14, s14
	v_add_co_u32_e32 v0, vcc, s15, v0
	v_addc_co_u32_e32 v1, vcc, v1, v14, vcc
	global_load_dword v0, v[0:1], off
	v_pack_b32_f16 v1, v2, v7
	ds_write_b32 v76, v1 offset:8960
	s_movk_i32 s1, 0x3b9c
	s_mov_b32 s13, 0xbb9c
	s_mov_b32 s14, 0xb8b4
	s_movk_i32 s0, 0x38b4
	s_movk_i32 s12, 0x34f2
	;; [unrolled: 1-line block ×3, first 2 shown]
	s_waitcnt vmcnt(16)
	v_lshrrev_b32_e32 v1, 16, v4
	v_mul_f16_sdwa v2, v61, v1 dst_sel:DWORD dst_unused:UNUSED_PAD src0_sel:WORD_1 src1_sel:DWORD
	v_fma_f16 v2, v61, v4, v2
	v_mul_f16_sdwa v4, v61, v4 dst_sel:DWORD dst_unused:UNUSED_PAD src0_sel:WORD_1 src1_sel:DWORD
	v_fma_f16 v1, v61, v1, -v4
	v_pack_b32_f16 v1, v2, v1
	ds_write_b32 v76, v1 offset:10240
	s_waitcnt vmcnt(15)
	v_lshrrev_b32_e32 v1, 16, v6
	s_waitcnt vmcnt(14)
	v_mul_f16_sdwa v2, v59, v1 dst_sel:DWORD dst_unused:UNUSED_PAD src0_sel:WORD_1 src1_sel:DWORD
	v_mul_f16_sdwa v4, v59, v6 dst_sel:DWORD dst_unused:UNUSED_PAD src0_sel:WORD_1 src1_sel:DWORD
	v_fma_f16 v2, v59, v6, v2
	v_fma_f16 v1, v59, v1, -v4
	v_pack_b32_f16 v1, v2, v1
	ds_write_b32 v76, v1 offset:11520
	s_waitcnt vmcnt(13)
	v_lshrrev_b32_e32 v1, 16, v5
	v_mul_f16_sdwa v2, v57, v1 dst_sel:DWORD dst_unused:UNUSED_PAD src0_sel:WORD_1 src1_sel:DWORD
	v_mul_f16_sdwa v4, v57, v5 dst_sel:DWORD dst_unused:UNUSED_PAD src0_sel:WORD_1 src1_sel:DWORD
	v_fma_f16 v2, v57, v5, v2
	v_fma_f16 v1, v57, v1, -v4
	v_pack_b32_f16 v1, v2, v1
	ds_write2_b32 v76, v16, v1 offset1:160
	s_waitcnt vmcnt(12)
	v_lshrrev_b32_e32 v1, 16, v8
	v_mul_f16_sdwa v2, v55, v1 dst_sel:DWORD dst_unused:UNUSED_PAD src0_sel:WORD_1 src1_sel:DWORD
	v_mul_f16_sdwa v4, v55, v8 dst_sel:DWORD dst_unused:UNUSED_PAD src0_sel:WORD_1 src1_sel:DWORD
	v_fma_f16 v2, v55, v8, v2
	v_fma_f16 v1, v55, v1, -v4
	v_pack_b32_f16 v1, v2, v1
	ds_write_b32 v76, v1 offset:1920
	s_waitcnt vmcnt(11)
	v_lshrrev_b32_e32 v1, 16, v9
	v_mul_f16_sdwa v2, v54, v1 dst_sel:DWORD dst_unused:UNUSED_PAD src0_sel:WORD_1 src1_sel:DWORD
	v_mul_f16_sdwa v4, v54, v9 dst_sel:DWORD dst_unused:UNUSED_PAD src0_sel:WORD_1 src1_sel:DWORD
	v_fma_f16 v2, v54, v9, v2
	v_fma_f16 v1, v54, v1, -v4
	v_pack_b32_f16 v1, v2, v1
	ds_write_b32 v76, v1 offset:3200
	;; [unrolled: 8-line block ×5, first 2 shown]
	s_waitcnt vmcnt(3)
	v_lshrrev_b32_e32 v1, 16, v3
	v_mul_f16_sdwa v2, v51, v1 dst_sel:DWORD dst_unused:UNUSED_PAD src0_sel:WORD_1 src1_sel:DWORD
	v_fma_f16 v2, v51, v3, v2
	v_mul_f16_sdwa v3, v51, v3 dst_sel:DWORD dst_unused:UNUSED_PAD src0_sel:WORD_1 src1_sel:DWORD
	v_fma_f16 v1, v51, v1, -v3
	v_pack_b32_f16 v1, v2, v1
	ds_write_b32 v76, v1 offset:8320
	s_waitcnt vmcnt(2)
	v_lshrrev_b32_e32 v1, 16, v13
	v_mul_f16_sdwa v2, v49, v1 dst_sel:DWORD dst_unused:UNUSED_PAD src0_sel:WORD_1 src1_sel:DWORD
	v_mul_f16_sdwa v3, v49, v13 dst_sel:DWORD dst_unused:UNUSED_PAD src0_sel:WORD_1 src1_sel:DWORD
	v_fma_f16 v2, v49, v13, v2
	v_fma_f16 v1, v49, v1, -v3
	v_pack_b32_f16 v1, v2, v1
	ds_write_b32 v76, v1 offset:9600
	s_waitcnt vmcnt(1)
	v_lshrrev_b32_e32 v1, 16, v15
	v_mul_f16_sdwa v2, v48, v1 dst_sel:DWORD dst_unused:UNUSED_PAD src0_sel:WORD_1 src1_sel:DWORD
	v_mul_f16_sdwa v3, v48, v15 dst_sel:DWORD dst_unused:UNUSED_PAD src0_sel:WORD_1 src1_sel:DWORD
	v_fma_f16 v2, v48, v15, v2
	v_fma_f16 v1, v48, v1, -v3
	v_pack_b32_f16 v1, v2, v1
	ds_write_b32 v76, v1 offset:10880
	s_waitcnt vmcnt(0)
	v_lshrrev_b32_e32 v1, 16, v0
	v_mul_f16_sdwa v2, v47, v1 dst_sel:DWORD dst_unused:UNUSED_PAD src0_sel:WORD_1 src1_sel:DWORD
	v_fma_f16 v2, v47, v0, v2
	v_mul_f16_sdwa v0, v47, v0 dst_sel:DWORD dst_unused:UNUSED_PAD src0_sel:WORD_1 src1_sel:DWORD
	v_fma_f16 v0, v47, v1, -v0
	v_pack_b32_f16 v0, v2, v0
	ds_write_b32 v76, v0 offset:12160
	s_waitcnt lgkmcnt(0)
	s_barrier
	ds_read2_b32 v[2:3], v79 offset1:160
	ds_read2_b32 v[10:11], v68 offset1:160
	;; [unrolled: 1-line block ×5, first 2 shown]
	ds_read2_b32 v[8:9], v70 offset0:64 offset1:224
	s_waitcnt lgkmcnt(4)
	v_add_f16_e32 v14, v2, v10
	s_waitcnt lgkmcnt(3)
	v_fma_f16 v14, v14, -0.5, v0
	v_sub_f16_sdwa v24, v2, v10 dst_sel:DWORD dst_unused:UNUSED_PAD src0_sel:WORD_1 src1_sel:WORD_1
	s_waitcnt lgkmcnt(1)
	v_sub_f16_sdwa v25, v4, v6 dst_sel:DWORD dst_unused:UNUSED_PAD src0_sel:WORD_1 src1_sel:WORD_1
	v_fma_f16 v15, v25, s13, v14
	v_sub_f16_e32 v16, v6, v10
	v_sub_f16_e32 v17, v4, v2
	v_fma_f16 v14, v25, s1, v14
	v_add_f16_e32 v16, v17, v16
	v_fma_f16 v14, v24, s14, v14
	v_fma_f16 v15, v24, s0, v15
	;; [unrolled: 1-line block ×3, first 2 shown]
	v_lshrrev_b32_e32 v22, 16, v0
	v_add_f16_sdwa v14, v2, v10 dst_sel:DWORD dst_unused:UNUSED_PAD src0_sel:WORD_1 src1_sel:WORD_1
	v_fma_f16 v26, v16, s12, v15
	v_sub_f16_e32 v29, v4, v6
	v_fma_f16 v14, v14, -0.5, v22
	v_sub_f16_sdwa v15, v4, v2 dst_sel:DWORD dst_unused:UNUSED_PAD src0_sel:WORD_1 src1_sel:WORD_1
	v_sub_f16_sdwa v16, v6, v10 dst_sel:DWORD dst_unused:UNUSED_PAD src0_sel:WORD_1 src1_sel:WORD_1
	v_sub_f16_e32 v28, v2, v10
	v_add_f16_e32 v18, v15, v16
	v_fma_f16 v15, v29, s1, v14
	v_fma_f16 v15, v28, s14, v15
	;; [unrolled: 1-line block ×3, first 2 shown]
	ds_read2_b32 v[12:13], v66 offset0:64 offset1:224
	v_fma_f16 v30, v18, s12, v15
	v_fma_f16 v19, v28, s0, v14
	ds_read2_b32 v[14:15], v80 offset0:64 offset1:224
	ds_read2_b32 v[16:17], v78 offset0:64 offset1:224
	v_fma_f16 v31, v18, s12, v19
	ds_read2_b32 v[18:19], v81 offset0:64 offset1:224
	s_waitcnt lgkmcnt(3)
	v_sub_f16_e32 v20, v8, v12
	s_waitcnt lgkmcnt(2)
	v_sub_f16_sdwa v32, v14, v12 dst_sel:DWORD dst_unused:UNUSED_PAD src0_sel:WORD_1 src1_sel:WORD_1
	s_waitcnt lgkmcnt(1)
	v_sub_f16_e32 v21, v16, v14
	v_add_f16_e32 v20, v21, v20
	v_add_f16_e32 v21, v14, v12
	s_waitcnt lgkmcnt(0)
	v_fma_f16 v21, v21, -0.5, v18
	v_sub_f16_sdwa v33, v16, v8 dst_sel:DWORD dst_unused:UNUSED_PAD src0_sel:WORD_1 src1_sel:WORD_1
	v_fma_f16 v23, v33, s13, v21
	v_fma_f16 v21, v33, s1, v21
	;; [unrolled: 1-line block ×6, first 2 shown]
	v_sub_f16_sdwa v21, v16, v14 dst_sel:DWORD dst_unused:UNUSED_PAD src0_sel:WORD_1 src1_sel:WORD_1
	v_sub_f16_sdwa v34, v8, v12 dst_sel:DWORD dst_unused:UNUSED_PAD src0_sel:WORD_1 src1_sel:WORD_1
	v_add_f16_e32 v21, v21, v34
	v_lshrrev_b32_e32 v34, 16, v18
	v_add_f16_sdwa v35, v14, v12 dst_sel:DWORD dst_unused:UNUSED_PAD src0_sel:WORD_1 src1_sel:WORD_1
	v_fma_f16 v35, v35, -0.5, v34
	v_sub_f16_e32 v37, v16, v8
	v_sub_f16_e32 v36, v14, v12
	v_fma_f16 v38, v37, s1, v35
	v_fma_f16 v38, v36, s14, v38
	;; [unrolled: 1-line block ×6, first 2 shown]
	v_mul_f16_e32 v35, 0x3b9c, v38
	v_fma_f16 v35, v23, s12, v35
	v_mul_f16_e32 v23, 0xbb9c, v23
	v_fma_f16 v38, v38, s12, v23
	v_mul_f16_e32 v23, 0xb4f2, v20
	v_fma_f16 v39, v21, s1, v23
	v_mul_f16_e32 v21, 0xb4f2, v21
	v_fma_f16 v40, v20, s13, v21
	v_add_f16_e32 v20, v27, v39
	v_add_f16_e32 v21, v31, v40
	v_pack_b32_f16 v21, v20, v21
	v_add_f16_e32 v20, v26, v35
	v_add_f16_e32 v23, v30, v38
	v_pack_b32_f16 v20, v20, v23
	v_sub_f16_e32 v23, v10, v6
	v_sub_f16_e32 v41, v2, v4
	v_add_f16_e32 v41, v41, v23
	v_add_f16_sdwa v23, v4, v6 dst_sel:DWORD dst_unused:UNUSED_PAD src0_sel:WORD_1 src1_sel:WORD_1
	v_fma_f16 v42, v23, -0.5, v22
	v_sub_f16_sdwa v22, v2, v4 dst_sel:DWORD dst_unused:UNUSED_PAD src0_sel:WORD_1 src1_sel:WORD_1
	v_sub_f16_sdwa v23, v10, v6 dst_sel:DWORD dst_unused:UNUSED_PAD src0_sel:WORD_1 src1_sel:WORD_1
	v_add_f16_e32 v43, v22, v23
	v_sub_f16_e32 v22, v12, v8
	v_sub_f16_e32 v23, v14, v16
	v_add_f16_e32 v44, v23, v22
	v_add_f16_sdwa v22, v16, v8 dst_sel:DWORD dst_unused:UNUSED_PAD src0_sel:WORD_1 src1_sel:WORD_1
	v_fma_f16 v34, v22, -0.5, v34
	v_sub_f16_sdwa v22, v14, v16 dst_sel:DWORD dst_unused:UNUSED_PAD src0_sel:WORD_1 src1_sel:WORD_1
	v_sub_f16_sdwa v23, v12, v8 dst_sel:DWORD dst_unused:UNUSED_PAD src0_sel:WORD_1 src1_sel:WORD_1
	v_add_f16_e32 v45, v22, v23
	v_add_f16_e32 v22, v16, v8
	v_fma_f16 v83, v22, -0.5, v18
	v_fma_f16 v22, v32, s1, v83
	v_fma_f16 v22, v33, s0, v22
	;; [unrolled: 1-line block ×6, first 2 shown]
	v_mul_f16_e32 v85, 0x3a79, v22
	v_mul_f16_e32 v22, 0xb8b4, v22
	v_fma_f16 v87, v23, s15, v22
	v_mul_lo_u16_e32 v22, 10, v74
	v_fma_f16 v86, v23, s0, v85
	v_lshlrev_b32_e32 v85, 2, v22
	v_add_f16_e32 v22, v4, v6
	v_fma_f16 v88, v22, -0.5, v0
	v_pk_add_f16 v0, v0, v2
	v_fma_f16 v22, v24, s1, v88
	v_pk_add_f16 v0, v0, v4
	v_fma_f16 v2, v28, s13, v42
	;; [unrolled: 2-line block ×3, first 2 shown]
	v_fma_f16 v2, v29, s14, v2
	v_pk_add_f16 v4, v4, v16
	v_fma_f16 v89, v41, s12, v22
	v_pk_add_f16 v0, v0, v6
	;; [unrolled: 2-line block ×3, first 2 shown]
	v_pk_add_f16 v0, v0, v10
	v_pk_add_f16 v4, v4, v12
	v_add_f16_e32 v6, v89, v86
	v_add_f16_e32 v8, v2, v87
	v_pack_b32_f16 v23, v6, v8
	v_pk_add_f16 v22, v0, v4
	v_sub_f16_e32 v8, v26, v35
	v_sub_f16_e32 v10, v30, v38
	s_barrier
	ds_write2_b64 v85, v[22:23], v[20:21] offset1:1
	v_pack_b32_f16 v21, v8, v10
	v_fma_f16 v8, v32, s13, v83
	v_fma_f16 v8, v33, s14, v8
	;; [unrolled: 1-line block ×3, first 2 shown]
	v_sub_f16_e32 v6, v89, v86
	v_sub_f16_e32 v2, v2, v87
	v_fma_f16 v8, v44, s12, v8
	v_fma_f16 v10, v37, s0, v10
	v_pack_b32_f16 v20, v6, v2
	v_fma_f16 v2, v24, s13, v88
	v_fma_f16 v6, v28, s1, v42
	;; [unrolled: 1-line block ×3, first 2 shown]
	v_mul_f16_e32 v12, 0xba79, v8
	v_fma_f16 v2, v25, s14, v2
	v_fma_f16 v6, v29, s0, v6
	;; [unrolled: 1-line block ×3, first 2 shown]
	v_mul_f16_e32 v10, 0xba79, v10
	v_fma_f16 v2, v41, s12, v2
	v_fma_f16 v6, v43, s12, v6
	;; [unrolled: 1-line block ×3, first 2 shown]
	v_pk_add_f16 v23, v0, v4 neg_lo:[0,1] neg_hi:[0,1]
	v_add_f16_e32 v0, v2, v12
	v_add_f16_e32 v4, v6, v8
	v_pack_b32_f16 v22, v0, v4
	v_pk_add_f16 v0, v1, v3
	v_pk_add_f16 v0, v0, v5
	;; [unrolled: 1-line block ×3, first 2 shown]
	ds_write2_b64 v85, v[22:23], v[20:21] offset0:2 offset1:3
	v_add_f16_e32 v4, v5, v7
	v_sub_f16_sdwa v10, v5, v7 dst_sel:DWORD dst_unused:UNUSED_PAD src0_sel:WORD_1 src1_sel:WORD_1
	v_add_f16_sdwa v18, v5, v7 dst_sel:DWORD dst_unused:UNUSED_PAD src0_sel:WORD_1 src1_sel:WORD_1
	v_sub_f16_e32 v20, v5, v7
	v_sub_f16_sdwa v22, v3, v11 dst_sel:DWORD dst_unused:UNUSED_PAD src0_sel:WORD_1 src1_sel:WORD_1
	v_add_f16_e32 v23, v3, v11
	v_sub_f16_e32 v24, v3, v11
	v_add_f16_sdwa v25, v3, v11 dst_sel:DWORD dst_unused:UNUSED_PAD src0_sel:WORD_1 src1_sel:WORD_1
	v_sub_f16_e32 v26, v11, v7
	v_sub_f16_e32 v28, v7, v11
	v_sub_f16_sdwa v29, v11, v7 dst_sel:DWORD dst_unused:UNUSED_PAD src0_sel:WORD_1 src1_sel:WORD_1
	v_sub_f16_sdwa v7, v7, v11 dst_sel:DWORD dst_unused:UNUSED_PAD src0_sel:WORD_1 src1_sel:WORD_1
	v_pk_add_f16 v11, v0, v11
	v_pk_add_f16 v0, v19, v15
	;; [unrolled: 1-line block ×4, first 2 shown]
	v_sub_f16_e32 v14, v3, v5
	v_sub_f16_e32 v16, v5, v3
	v_sub_f16_sdwa v21, v3, v5 dst_sel:DWORD dst_unused:UNUSED_PAD src0_sel:WORD_1 src1_sel:WORD_1
	v_sub_f16_sdwa v5, v5, v3 dst_sel:DWORD dst_unused:UNUSED_PAD src0_sel:WORD_1 src1_sel:WORD_1
	v_add_f16_e32 v30, v17, v9
	v_sub_f16_sdwa v32, v17, v9 dst_sel:DWORD dst_unused:UNUSED_PAD src0_sel:WORD_1 src1_sel:WORD_1
	v_sub_f16_e32 v33, v15, v17
	v_sub_f16_e32 v34, v17, v15
	v_add_f16_sdwa v35, v17, v9 dst_sel:DWORD dst_unused:UNUSED_PAD src0_sel:WORD_1 src1_sel:WORD_1
	v_sub_f16_e32 v36, v17, v9
	v_sub_f16_sdwa v37, v15, v17 dst_sel:DWORD dst_unused:UNUSED_PAD src0_sel:WORD_1 src1_sel:WORD_1
	v_sub_f16_sdwa v17, v17, v15 dst_sel:DWORD dst_unused:UNUSED_PAD src0_sel:WORD_1 src1_sel:WORD_1
	;; [unrolled: 1-line block ×3, first 2 shown]
	v_add_f16_e32 v41, v15, v13
	v_sub_f16_e32 v42, v15, v13
	v_add_f16_sdwa v15, v15, v13 dst_sel:DWORD dst_unused:UNUSED_PAD src0_sel:WORD_1 src1_sel:WORD_1
	v_sub_f16_e32 v43, v13, v9
	v_sub_f16_e32 v44, v9, v13
	v_sub_f16_sdwa v45, v13, v9 dst_sel:DWORD dst_unused:UNUSED_PAD src0_sel:WORD_1 src1_sel:WORD_1
	v_sub_f16_sdwa v9, v9, v13 dst_sel:DWORD dst_unused:UNUSED_PAD src0_sel:WORD_1 src1_sel:WORD_1
	v_pk_add_f16 v13, v0, v13
	v_sub_f16_e32 v0, v27, v39
	v_sub_f16_e32 v2, v2, v12
	;; [unrolled: 1-line block ×4, first 2 shown]
	v_pack_b32_f16 v3, v2, v3
	v_pack_b32_f16 v2, v0, v12
	ds_write_b64 v85, v[2:3] offset:32
	v_fma_f16 v2, v4, -0.5, v1
	v_fma_f16 v3, v22, s1, v2
	v_fma_f16 v2, v22, s13, v2
	v_fma_f16 v4, v23, -0.5, v1
	v_lshrrev_b32_e32 v1, 16, v1
	v_add_f16_e32 v0, v14, v26
	v_fma_f16 v3, v10, s0, v3
	v_fma_f16 v2, v10, s14, v2
	;; [unrolled: 1-line block ×4, first 2 shown]
	v_fma_f16 v8, v18, -0.5, v1
	v_fma_f16 v3, v0, s12, v3
	v_fma_f16 v0, v0, s12, v2
	v_add_f16_e32 v2, v16, v28
	v_fma_f16 v6, v22, s0, v6
	v_fma_f16 v4, v22, s14, v4
	;; [unrolled: 1-line block ×6, first 2 shown]
	v_add_f16_e32 v4, v21, v29
	v_fma_f16 v10, v20, s14, v10
	v_fma_f16 v8, v20, s0, v8
	v_fma_f16 v1, v25, -0.5, v1
	v_fma_f16 v10, v4, s12, v10
	v_fma_f16 v4, v4, s12, v8
	v_add_f16_e32 v5, v5, v7
	v_fma_f16 v7, v20, s1, v1
	v_fma_f16 v1, v20, s13, v1
	v_fma_f16 v8, v30, -0.5, v19
	v_fma_f16 v7, v24, s14, v7
	v_fma_f16 v1, v24, s0, v1
	;; [unrolled: 1-line block ×4, first 2 shown]
	v_fma_f16 v14, v41, -0.5, v19
	v_fma_f16 v7, v5, s12, v7
	v_fma_f16 v1, v5, s12, v1
	v_add_f16_e32 v5, v33, v43
	v_fma_f16 v12, v32, s0, v12
	v_fma_f16 v8, v32, s14, v8
	;; [unrolled: 1-line block ×6, first 2 shown]
	v_add_f16_e32 v8, v34, v44
	v_fma_f16 v16, v38, s0, v16
	v_fma_f16 v14, v38, s14, v14
	;; [unrolled: 1-line block ×4, first 2 shown]
	v_lshrrev_b32_e32 v14, 16, v19
	v_fma_f16 v19, v35, -0.5, v14
	v_fma_f16 v14, v15, -0.5, v14
	v_fma_f16 v15, v36, s1, v14
	v_add_f16_e32 v9, v17, v9
	v_fma_f16 v15, v42, s14, v15
	v_fma_f16 v15, v9, s12, v15
	;; [unrolled: 1-line block ×3, first 2 shown]
	v_mul_f16_e32 v17, 0x3b9c, v15
	v_fma_f16 v14, v42, s0, v14
	v_fma_f16 v17, v16, s12, v17
	v_mul_f16_e32 v16, 0xbb9c, v16
	v_fma_f16 v20, v42, s13, v19
	v_fma_f16 v19, v42, s1, v19
	v_fma_f16 v9, v9, s12, v14
	v_fma_f16 v15, v15, s12, v16
	v_mul_f16_e32 v16, 0xb4f2, v8
	v_add_f16_e32 v18, v37, v45
	v_fma_f16 v20, v36, s14, v20
	v_fma_f16 v19, v36, s0, v19
	;; [unrolled: 1-line block ×3, first 2 shown]
	v_mul_f16_e32 v9, 0xb4f2, v9
	v_fma_f16 v20, v18, s12, v20
	v_fma_f16 v18, v18, s12, v19
	v_mul_f16_e32 v14, 0x3a79, v12
	v_mul_f16_e32 v12, 0xb8b4, v12
	v_fma_f16 v8, v8, s13, v9
	v_mul_f16_e32 v9, 0xba79, v5
	v_add_co_u32_e32 v30, vcc, s20, v74
	v_fma_f16 v14, v20, s0, v14
	v_fma_f16 v12, v20, s15, v12
	;; [unrolled: 1-line block ×3, first 2 shown]
	v_mul_f16_e32 v18, 0xba79, v18
	v_fma_f16 v5, v5, s14, v18
	v_add_f16_e32 v18, v3, v14
	v_sub_f16_e32 v14, v3, v14
	v_add_f16_e32 v19, v6, v17
	v_sub_f16_e32 v6, v6, v17
	;; [unrolled: 2-line block ×5, first 2 shown]
	v_add_f16_e32 v2, v7, v15
	v_add_f16_e32 v12, v1, v8
	v_sub_f16_e32 v8, v1, v8
	v_mul_u32_u24_e32 v1, 10, v30
	v_sub_f16_e32 v7, v7, v15
	v_add_f16_e32 v15, v4, v5
	v_lshlrev_b32_e32 v86, 2, v1
	v_pack_b32_f16 v1, v18, v0
	v_pk_add_f16 v0, v11, v13
	v_pack_b32_f16 v3, v3, v12
	v_pack_b32_f16 v2, v19, v2
	v_sub_f16_e32 v4, v4, v5
	ds_write2_b64 v86, v[0:1], v[2:3] offset1:1
	v_pk_add_f16 v1, v11, v13 neg_lo:[0,1] neg_hi:[0,1]
	v_pack_b32_f16 v2, v14, v10
	v_pack_b32_f16 v3, v6, v7
	v_pack_b32_f16 v0, v17, v15
	ds_write2_b64 v86, v[0:1], v[2:3] offset0:2 offset1:3
	v_pack_b32_f16 v1, v9, v4
	v_pack_b32_f16 v0, v16, v8
	ds_write_b64 v86, v[0:1] offset:32
	v_mul_lo_u16_sdwa v0, v74, s18 dst_sel:DWORD dst_unused:UNUSED_PAD src0_sel:BYTE_0 src1_sel:DWORD
	v_lshrrev_b16_e32 v12, 11, v0
	v_mul_lo_u16_e32 v0, 10, v12
	v_sub_u16_e32 v0, v74, v0
	v_and_b32_e32 v13, 0xff, v0
	v_mad_u64_u32 v[8:9], s[18:19], v13, 36, s[2:3]
	s_waitcnt lgkmcnt(0)
	s_barrier
	global_load_dwordx4 v[4:7], v[8:9], off
	global_load_dwordx4 v[0:3], v[8:9], off offset:16
	global_load_dword v83, v[8:9], off offset:32
	ds_read2_b32 v[20:21], v79 offset1:160
	ds_read2_b32 v[15:16], v77 offset1:160
	ds_read2_b32 v[17:18], v72 offset1:160
	ds_read2_b32 v[22:23], v80 offset0:64 offset1:224
	ds_read2_b32 v[24:25], v78 offset0:64 offset1:224
	s_waitcnt lgkmcnt(4)
	v_lshrrev_b32_e32 v8, 16, v20
	s_waitcnt lgkmcnt(3)
	v_lshrrev_b32_e32 v9, 16, v15
	ds_read2_b32 v[26:27], v70 offset0:64 offset1:224
	ds_read2_b32 v[28:29], v66 offset0:64 offset1:224
	ds_read2_b32 v[41:42], v81 offset0:64 offset1:224
	v_mul_u32_u24_e32 v12, 0x64, v12
	v_add_lshl_u32 v87, v12, v13, 2
	s_mov_b32 s18, 0xcccd
	s_waitcnt lgkmcnt(1)
	v_lshrrev_b32_e32 v14, 16, v28
	s_waitcnt vmcnt(2)
	v_mul_f16_sdwa v10, v20, v5 dst_sel:DWORD dst_unused:UNUSED_PAD src0_sel:DWORD src1_sel:WORD_1
	v_fma_f16 v31, v8, v5, v10
	v_mul_f16_sdwa v8, v8, v5 dst_sel:DWORD dst_unused:UNUSED_PAD src0_sel:DWORD src1_sel:WORD_1
	v_fma_f16 v33, v20, v5, -v8
	ds_read2_b32 v[19:20], v68 offset1:160
	v_mul_f16_sdwa v8, v15, v7 dst_sel:DWORD dst_unused:UNUSED_PAD src0_sel:DWORD src1_sel:WORD_1
	v_fma_f16 v32, v9, v7, v8
	v_mul_f16_sdwa v8, v9, v7 dst_sel:DWORD dst_unused:UNUSED_PAD src0_sel:DWORD src1_sel:WORD_1
	v_fma_f16 v35, v15, v7, -v8
	v_lshrrev_b32_e32 v8, 16, v17
	s_waitcnt vmcnt(1)
	v_mul_f16_sdwa v9, v17, v1 dst_sel:DWORD dst_unused:UNUSED_PAD src0_sel:DWORD src1_sel:WORD_1
	v_fma_f16 v34, v8, v1, v9
	v_mul_f16_sdwa v8, v8, v1 dst_sel:DWORD dst_unused:UNUSED_PAD src0_sel:DWORD src1_sel:WORD_1
	v_fma_f16 v36, v17, v1, -v8
	s_waitcnt lgkmcnt(0)
	v_lshrrev_b32_e32 v8, 16, v19
	v_mul_f16_sdwa v9, v19, v3 dst_sel:DWORD dst_unused:UNUSED_PAD src0_sel:DWORD src1_sel:WORD_1
	v_fma_f16 v17, v8, v3, v9
	v_mul_f16_sdwa v8, v8, v3 dst_sel:DWORD dst_unused:UNUSED_PAD src0_sel:DWORD src1_sel:WORD_1
	v_fma_f16 v19, v19, v3, -v8
	v_sub_f16_e32 v8, v33, v35
	v_sub_f16_e32 v9, v19, v36
	v_add_f16_e32 v37, v8, v9
	v_sub_f16_e32 v8, v31, v32
	v_sub_f16_e32 v9, v17, v34
	v_add_f16_e32 v38, v8, v9
	v_lshrrev_b32_e32 v8, 16, v22
	v_mul_f16_sdwa v9, v22, v6 dst_sel:DWORD dst_unused:UNUSED_PAD src0_sel:DWORD src1_sel:WORD_1
	v_fma_f16 v45, v8, v6, v9
	v_mul_f16_sdwa v8, v8, v6 dst_sel:DWORD dst_unused:UNUSED_PAD src0_sel:DWORD src1_sel:WORD_1
	v_fma_f16 v22, v22, v6, -v8
	v_lshrrev_b32_e32 v8, 16, v24
	v_mul_f16_sdwa v9, v24, v0 dst_sel:DWORD dst_unused:UNUSED_PAD src0_sel:DWORD src1_sel:WORD_1
	v_fma_f16 v89, v8, v0, v9
	v_mul_f16_sdwa v8, v8, v0 dst_sel:DWORD dst_unused:UNUSED_PAD src0_sel:DWORD src1_sel:WORD_1
	v_fma_f16 v24, v24, v0, -v8
	v_lshrrev_b32_e32 v8, 16, v26
	v_mul_f16_sdwa v9, v26, v2 dst_sel:DWORD dst_unused:UNUSED_PAD src0_sel:DWORD src1_sel:WORD_1
	s_waitcnt vmcnt(0)
	v_mul_f16_sdwa v15, v28, v83 dst_sel:DWORD dst_unused:UNUSED_PAD src0_sel:DWORD src1_sel:WORD_1
	v_fma_f16 v90, v8, v2, v9
	v_mul_f16_sdwa v8, v8, v2 dst_sel:DWORD dst_unused:UNUSED_PAD src0_sel:DWORD src1_sel:WORD_1
	v_fma_f16 v93, v14, v83, v15
	v_mul_f16_sdwa v14, v14, v83 dst_sel:DWORD dst_unused:UNUSED_PAD src0_sel:DWORD src1_sel:WORD_1
	v_fma_f16 v26, v26, v2, -v8
	v_fma_f16 v28, v28, v83, -v14
	v_sub_f16_e32 v14, v22, v24
	v_sub_f16_e32 v15, v28, v26
	v_add_f16_e32 v94, v14, v15
	v_sub_f16_e32 v14, v45, v89
	v_sub_f16_e32 v15, v93, v90
	v_add_f16_e32 v95, v14, v15
	v_lshrrev_b32_e32 v14, 16, v41
	v_mul_f16_sdwa v15, v41, v4 dst_sel:DWORD dst_unused:UNUSED_PAD src0_sel:DWORD src1_sel:WORD_1
	v_fma_f16 v96, v14, v4, v15
	v_mul_f16_sdwa v14, v14, v4 dst_sel:DWORD dst_unused:UNUSED_PAD src0_sel:DWORD src1_sel:WORD_1
	v_add_f16_e32 v15, v89, v90
	v_fma_f16 v41, v41, v4, -v14
	v_add_f16_e32 v14, v24, v26
	v_fma_f16 v100, v15, -0.5, v96
	v_sub_f16_e32 v101, v22, v28
	v_fma_f16 v97, v14, -0.5, v41
	v_sub_f16_e32 v98, v45, v93
	v_fma_f16 v15, v101, s13, v100
	v_sub_f16_e32 v102, v24, v26
	v_fma_f16 v14, v98, s1, v97
	;; [unrolled: 2-line block ×3, first 2 shown]
	v_fma_f16 v14, v99, s0, v14
	v_fma_f16 v15, v95, s12, v15
	v_fma_f16 v14, v94, s12, v14
	v_mul_f16_e32 v43, 0x38b4, v15
	v_fma_f16 v103, v14, s15, v43
	ds_read2_b32 v[43:44], v76 offset1:160
	v_mul_u32_u24_sdwa v8, v30, s18 dst_sel:DWORD dst_unused:UNUSED_PAD src0_sel:WORD_0 src1_sel:DWORD
	v_lshrrev_b32_e32 v91, 19, v8
	v_mul_lo_u16_e32 v8, 10, v91
	v_sub_u16_e32 v92, v30, v8
	s_waitcnt lgkmcnt(0)
	v_add_f16_e32 v12, v43, v33
	v_add_f16_e32 v12, v12, v35
	;; [unrolled: 1-line block ×3, first 2 shown]
	v_lshrrev_b32_e32 v107, 16, v43
	v_add_f16_e32 v106, v12, v19
	v_add_f16_e32 v12, v107, v31
	;; [unrolled: 1-line block ×10, first 2 shown]
	v_mul_lo_u16_e32 v8, 36, v92
	v_add_f16_e32 v12, v12, v89
	v_add_co_u32_e32 v39, vcc, s2, v8
	v_add_f16_e32 v12, v12, v90
	v_addc_co_u32_e32 v40, vcc, 0, v104, vcc
	v_add_f16_e32 v110, v12, v93
	global_load_dwordx4 v[8:11], v[39:40], off
	v_add_f16_e32 v12, v106, v109
	v_add_f16_e32 v13, v108, v110
	v_pack_b32_f16 v111, v12, v13
	v_add_f16_e32 v12, v35, v36
	v_fma_f16 v112, v12, -0.5, v43
	v_sub_f16_e32 v113, v31, v17
	v_fma_f16 v12, v113, s1, v112
	v_sub_f16_e32 v114, v32, v34
	v_fma_f16 v12, v114, s0, v12
	v_fma_f16 v115, v37, s12, v12
	v_add_f16_e32 v12, v32, v34
	v_fma_f16 v116, v12, -0.5, v107
	v_sub_f16_e32 v117, v33, v19
	v_fma_f16 v12, v117, s13, v116
	v_sub_f16_e32 v118, v35, v36
	v_mul_f16_e32 v14, 0xb8b4, v14
	v_fma_f16 v12, v118, s14, v12
	v_fma_f16 v105, v15, s15, v14
	;; [unrolled: 1-line block ×3, first 2 shown]
	v_add_f16_e32 v12, v115, v103
	v_add_f16_e32 v13, v119, v105
	v_pack_b32_f16 v120, v12, v13
	global_load_dword v88, v[39:40], off offset:32
	global_load_dwordx4 v[12:15], v[39:40], off offset:16
	v_sub_f16_e32 v35, v35, v33
	v_add_f16_e32 v33, v33, v19
	v_sub_f16_e32 v19, v36, v19
	v_fma_f16 v33, v33, -0.5, v43
	v_add_f16_e32 v19, v35, v19
	v_fma_f16 v35, v114, s13, v33
	v_fma_f16 v33, v114, s1, v33
	v_fma_f16 v35, v113, s0, v35
	v_fma_f16 v33, v113, s14, v33
	v_fma_f16 v35, v19, s12, v35
	v_fma_f16 v19, v19, s12, v33
	v_add_f16_e32 v33, v31, v17
	v_fma_f16 v33, v33, -0.5, v107
	v_sub_f16_e32 v31, v32, v31
	v_sub_f16_e32 v17, v34, v17
	v_add_f16_e32 v17, v31, v17
	v_fma_f16 v31, v118, s1, v33
	v_fma_f16 v32, v118, s13, v33
	v_fma_f16 v31, v117, s14, v31
	v_fma_f16 v32, v117, s0, v32
	v_fma_f16 v31, v17, s12, v31
	v_fma_f16 v17, v17, s12, v32
	v_add_f16_e32 v32, v22, v28
	v_fma_f16 v32, v32, -0.5, v41
	v_sub_f16_e32 v22, v24, v22
	v_sub_f16_e32 v24, v26, v28
	v_add_f16_e32 v22, v22, v24
	v_fma_f16 v24, v99, s13, v32
	v_fma_f16 v26, v99, s1, v32
	v_fma_f16 v24, v98, s0, v24
	v_fma_f16 v26, v98, s14, v26
	v_fma_f16 v24, v22, s12, v24
	v_fma_f16 v22, v22, s12, v26
	v_add_f16_e32 v26, v45, v93
	v_fma_f16 v26, v26, -0.5, v96
	v_sub_f16_e32 v28, v89, v45
	v_sub_f16_e32 v32, v90, v93
	v_add_f16_e32 v28, v28, v32
	v_fma_f16 v32, v102, s1, v26
	v_fma_f16 v32, v101, s14, v32
	;; [unrolled: 1-line block ×6, first 2 shown]
	v_mul_f16_e32 v28, 0x3b9c, v32
	v_fma_f16 v28, v24, s12, v28
	v_mul_f16_e32 v24, 0xbb9c, v24
	v_fma_f16 v24, v32, s12, v24
	;; [unrolled: 2-line block ×4, first 2 shown]
	v_add_f16_e32 v26, v35, v28
	v_add_f16_e32 v33, v31, v24
	v_pack_b32_f16 v26, v26, v33
	v_add_f16_e32 v33, v19, v32
	v_add_f16_e32 v34, v17, v22
	v_pack_b32_f16 v33, v33, v34
	v_fma_f16 v34, v98, s13, v97
	s_waitcnt vmcnt(0)
	s_barrier
	ds_write2_b32 v87, v26, v33 offset0:20 offset1:30
	v_fma_f16 v26, v113, s13, v112
	v_fma_f16 v34, v99, s14, v34
	;; [unrolled: 1-line block ×9, first 2 shown]
	v_mul_f16_e32 v37, 0xba79, v34
	v_fma_f16 v33, v118, s0, v33
	v_fma_f16 v37, v36, s0, v37
	v_mul_f16_e32 v36, 0xba79, v36
	v_fma_f16 v33, v38, s12, v33
	v_fma_f16 v34, v34, s14, v36
	v_sub_f16_e32 v36, v106, v109
	v_sub_f16_e32 v38, v108, v110
	v_add_f16_e32 v39, v26, v37
	v_add_f16_e32 v40, v33, v34
	v_pack_b32_f16 v39, v39, v40
	v_pack_b32_f16 v36, v36, v38
	ds_write2_b32 v87, v39, v36 offset0:40 offset1:50
	v_sub_f16_e32 v36, v115, v103
	v_sub_f16_e32 v28, v35, v28
	;; [unrolled: 1-line block ×4, first 2 shown]
	v_pack_b32_f16 v31, v36, v35
	v_pack_b32_f16 v24, v28, v24
	ds_write2_b32 v87, v31, v24 offset0:60 offset1:70
	v_sub_f16_e32 v19, v19, v32
	v_sub_f16_e32 v24, v26, v37
	;; [unrolled: 1-line block ×4, first 2 shown]
	v_pack_b32_f16 v17, v19, v17
	v_pack_b32_f16 v19, v24, v22
	ds_write2_b32 v87, v17, v19 offset0:80 offset1:90
	v_lshrrev_b32_e32 v17, 16, v42
	v_mul_f16_sdwa v22, v42, v8 dst_sel:DWORD dst_unused:UNUSED_PAD src0_sel:DWORD src1_sel:WORD_1
	v_mul_f16_sdwa v19, v17, v8 dst_sel:DWORD dst_unused:UNUSED_PAD src0_sel:DWORD src1_sel:WORD_1
	v_fma_f16 v17, v17, v8, v22
	v_lshrrev_b32_e32 v22, 16, v21
	v_mul_f16_sdwa v24, v22, v9 dst_sel:DWORD dst_unused:UNUSED_PAD src0_sel:DWORD src1_sel:WORD_1
	v_fma_f16 v24, v21, v9, -v24
	v_mul_f16_sdwa v21, v21, v9 dst_sel:DWORD dst_unused:UNUSED_PAD src0_sel:DWORD src1_sel:WORD_1
	v_fma_f16 v21, v22, v9, v21
	v_lshrrev_b32_e32 v22, 16, v23
	v_mul_f16_sdwa v26, v22, v10 dst_sel:DWORD dst_unused:UNUSED_PAD src0_sel:DWORD src1_sel:WORD_1
	v_fma_f16 v26, v23, v10, -v26
	;; [unrolled: 5-line block ×7, first 2 shown]
	v_mul_f16_sdwa v20, v20, v15 dst_sel:DWORD dst_unused:UNUSED_PAD src0_sel:DWORD src1_sel:WORD_1
	v_fma_f16 v20, v27, v15, v20
	v_lshrrev_b32_e32 v27, 16, v29
	v_mul_f16_sdwa v35, v27, v88 dst_sel:DWORD dst_unused:UNUSED_PAD src0_sel:DWORD src1_sel:WORD_1
	v_sub_f16_e32 v39, v24, v28
	v_sub_f16_e32 v40, v34, v32
	v_fma_f16 v35, v29, v88, -v35
	v_mul_f16_sdwa v29, v29, v88 dst_sel:DWORD dst_unused:UNUSED_PAD src0_sel:DWORD src1_sel:WORD_1
	v_add_f16_e32 v39, v39, v40
	v_sub_f16_e32 v40, v21, v16
	v_sub_f16_e32 v41, v20, v18
	v_fma_f16 v19, v42, v8, -v19
	v_fma_f16 v27, v27, v88, v29
	v_add_f16_e32 v40, v40, v41
	v_sub_f16_e32 v41, v26, v31
	v_sub_f16_e32 v42, v35, v33
	v_add_f16_e32 v41, v41, v42
	v_sub_f16_e32 v42, v22, v23
	v_sub_f16_e32 v43, v27, v25
	v_add_f16_e32 v89, v23, v25
	v_add_f16_e32 v29, v28, v32
	;; [unrolled: 1-line block ×5, first 2 shown]
	v_fma_f16 v93, v89, -0.5, v17
	v_sub_f16_e32 v94, v26, v35
	v_fma_f16 v29, v29, -0.5, v44
	v_fma_f16 v36, v36, -0.5, v44
	v_lshrrev_b32_e32 v37, 16, v44
	v_add_f16_e32 v38, v44, v24
	v_fma_f16 v43, v43, -0.5, v19
	v_sub_f16_e32 v44, v22, v27
	v_fma_f16 v89, v94, s13, v93
	v_sub_f16_e32 v95, v31, v33
	v_fma_f16 v45, v44, s1, v43
	;; [unrolled: 2-line block ×3, first 2 shown]
	v_fma_f16 v45, v90, s0, v45
	v_fma_f16 v89, v42, s12, v89
	;; [unrolled: 1-line block ×3, first 2 shown]
	v_mul_f16_e32 v96, 0x38b4, v89
	v_fma_f16 v96, v45, s15, v96
	v_mul_f16_e32 v45, 0xb8b4, v45
	s_movk_i32 s18, 0x64
	v_fma_f16 v45, v89, s15, v45
	v_mad_legacy_u16 v89, v91, s18, v92
	v_add_f16_e32 v91, v37, v21
	v_add_f16_e32 v92, v19, v26
	;; [unrolled: 1-line block ×17, first 2 shown]
	v_sub_f16_e32 v101, v16, v18
	v_sub_f16_e32 v103, v24, v34
	;; [unrolled: 1-line block ×5, first 2 shown]
	v_pack_b32_f16 v98, v98, v99
	v_sub_f16_e32 v99, v21, v20
	v_add_f16_e32 v24, v24, v28
	v_fma_f16 v28, v101, s13, v36
	v_fma_f16 v32, v101, s1, v36
	;; [unrolled: 1-line block ×6, first 2 shown]
	v_add_f16_e32 v32, v21, v20
	v_add_f16_e32 v102, v16, v18
	v_fma_f16 v32, v32, -0.5, v37
	v_sub_f16_e32 v16, v16, v21
	v_sub_f16_e32 v18, v18, v20
	v_add_f16_e32 v16, v16, v18
	v_fma_f16 v18, v106, s1, v32
	v_fma_f16 v20, v106, s13, v32
	v_fma_f16 v18, v103, s14, v18
	v_fma_f16 v20, v103, s0, v20
	v_fma_f16 v18, v16, s12, v18
	v_fma_f16 v16, v16, s12, v20
	v_add_f16_e32 v20, v26, v35
	v_fma_f16 v19, v20, -0.5, v19
	v_sub_f16_e32 v20, v31, v26
	v_sub_f16_e32 v21, v33, v35
	v_add_f16_e32 v20, v20, v21
	v_fma_f16 v21, v90, s13, v19
	v_fma_f16 v19, v90, s1, v19
	v_fma_f16 v21, v44, s0, v21
	v_fma_f16 v19, v44, s14, v19
	v_fma_f16 v21, v20, s12, v21
	v_fma_f16 v19, v20, s12, v19
	;; [unrolled: 11-line block ×3, first 2 shown]
	v_mul_f16_e32 v20, 0x3b9c, v22
	v_fma_f16 v20, v21, s12, v20
	v_mul_f16_e32 v21, 0xbb9c, v21
	v_fma_f16 v21, v22, s12, v21
	v_mul_f16_e32 v22, 0xb4f2, v19
	v_fma_f16 v22, v17, s1, v22
	v_mul_f16_e32 v17, 0xb4f2, v17
	v_fma_f16 v17, v19, s13, v17
	v_add_f16_e32 v19, v28, v20
	v_add_f16_e32 v23, v18, v21
	v_pack_b32_f16 v19, v19, v23
	v_add_f16_e32 v23, v24, v22
	v_add_f16_e32 v25, v16, v17
	v_pack_b32_f16 v23, v23, v25
	v_fma_f16 v25, v44, s13, v43
	v_fma_f16 v25, v90, s14, v25
	;; [unrolled: 1-line block ×3, first 2 shown]
	v_fma_f16 v102, v102, -0.5, v37
	v_lshlrev_b32_e32 v89, 2, v89
	v_fma_f16 v25, v41, s12, v25
	v_fma_f16 v26, v95, s0, v26
	ds_write2_b32 v87, v111, v120 offset1:10
	ds_write2_b32 v89, v19, v23 offset0:20 offset1:30
	v_fma_f16 v19, v99, s13, v29
	v_fma_f16 v23, v103, s1, v102
	v_fma_f16 v26, v42, s12, v26
	v_mul_f16_e32 v27, 0xba79, v25
	v_fma_f16 v19, v101, s14, v19
	v_fma_f16 v23, v106, s0, v23
	;; [unrolled: 1-line block ×3, first 2 shown]
	v_mul_f16_e32 v26, 0xba79, v26
	v_fma_f16 v100, v99, s1, v29
	v_fma_f16 v105, v103, s13, v102
	;; [unrolled: 1-line block ×7, first 2 shown]
	v_sub_f16_e32 v26, v38, v92
	v_sub_f16_e32 v29, v91, v97
	v_add_f16_e32 v31, v19, v27
	v_add_f16_e32 v32, v23, v25
	v_fma_f16 v100, v39, s12, v100
	v_fma_f16 v105, v40, s12, v105
	v_pack_b32_f16 v31, v31, v32
	v_pack_b32_f16 v26, v26, v29
	ds_write2_b32 v89, v31, v26 offset0:40 offset1:50
	v_sub_f16_e32 v26, v100, v96
	v_sub_f16_e32 v20, v28, v20
	;; [unrolled: 1-line block ×4, first 2 shown]
	v_pack_b32_f16 v21, v26, v28
	v_pack_b32_f16 v18, v20, v18
	ds_write2_b32 v89, v21, v18 offset0:60 offset1:70
	v_sub_f16_e32 v18, v24, v22
	v_sub_f16_e32 v19, v19, v27
	;; [unrolled: 1-line block ×4, first 2 shown]
	v_pack_b32_f16 v16, v18, v16
	v_pack_b32_f16 v17, v19, v17
	ds_write2_b32 v89, v16, v17 offset0:80 offset1:90
	v_add_u32_e32 v16, 0xffffff9c, v74
	v_cmp_gt_u16_e32 vcc, s18, v74
	v_cndmask_b32_e32 v25, v16, v74, vcc
	v_mul_i32_i24_e32 v16, 12, v25
	v_add_f16_e32 v107, v100, v96
	v_add_f16_e32 v108, v105, v45
	v_mul_hi_i32_i24_e32 v17, 12, v25
	v_add_co_u32_e32 v16, vcc, s2, v16
	v_pack_b32_f16 v107, v107, v108
	v_addc_co_u32_e32 v17, vcc, v104, v17, vcc
	ds_write2_b32 v89, v98, v107 offset1:10
	s_waitcnt lgkmcnt(0)
	s_barrier
	global_load_dwordx3 v[16:18], v[16:17], off offset:360
	v_lshrrev_b16_e32 v19, 2, v30
	v_mul_u32_u24_e32 v19, 0x147b, v19
	v_lshrrev_b32_e32 v45, 17, v19
	v_mul_lo_u16_e32 v19, 0x64, v45
	v_sub_u16_e32 v92, v30, v19
	v_add_u16_e32 v19, 0x1e0, v74
	v_lshrrev_b16_e32 v20, 2, v19
	v_mul_u32_u24_e32 v20, 0x147b, v20
	v_lshrrev_b32_e32 v97, 17, v20
	v_mul_lo_u16_e32 v20, 0x64, v97
	v_sub_u16_e32 v102, v19, v20
	v_add_u16_e32 v19, 0x280, v74
	v_lshrrev_b16_e32 v20, 2, v19
	v_mul_u32_u24_e32 v20, 0x147b, v20
	v_lshrrev_b32_e32 v103, 17, v20
	v_mul_lo_u16_e32 v20, 0x64, v103
	s_movk_i32 s18, 0x63
	v_sub_u16_e32 v105, v19, v20
	v_mov_b32_e32 v19, 0x190
	v_cmp_lt_u16_e32 vcc, s18, v74
	v_cndmask_b32_e32 v26, 0, v19, vcc
	ds_read2_b32 v[19:20], v79 offset1:160
	v_mul_lo_u16_e32 v21, 12, v92
	v_add_co_u32_e32 v21, vcc, s2, v21
	v_addc_co_u32_e32 v22, vcc, 0, v104, vcc
	global_load_dwordx3 v[22:24], v[21:22], off offset:360
	v_add_lshl_u32 v90, v25, v26, 2
	s_waitcnt lgkmcnt(0)
	v_lshrrev_b32_e32 v21, 16, v20
	ds_read2_b32 v[27:28], v78 offset0:64 offset1:224
	s_movk_i32 s18, 0x140
	v_add_co_u32_e32 v106, vcc, s18, v74
	s_movk_i32 s18, 0x190
	s_waitcnt lgkmcnt(0)
	v_lshrrev_b32_e32 v29, 16, v27
	v_mad_legacy_u16 v45, v45, s18, v92
	s_waitcnt vmcnt(1)
	v_mul_f16_sdwa v25, v20, v16 dst_sel:DWORD dst_unused:UNUSED_PAD src0_sel:DWORD src1_sel:WORD_1
	v_fma_f16 v25, v21, v16, v25
	v_mul_f16_sdwa v21, v21, v16 dst_sel:DWORD dst_unused:UNUSED_PAD src0_sel:DWORD src1_sel:WORD_1
	v_fma_f16 v26, v20, v16, -v21
	ds_read2_b32 v[20:21], v70 offset0:64 offset1:224
	v_mul_f16_sdwa v30, v27, v17 dst_sel:DWORD dst_unused:UNUSED_PAD src0_sel:DWORD src1_sel:WORD_1
	v_fma_f16 v31, v29, v17, v30
	v_mul_f16_sdwa v29, v29, v17 dst_sel:DWORD dst_unused:UNUSED_PAD src0_sel:DWORD src1_sel:WORD_1
	v_fma_f16 v27, v27, v17, -v29
	s_waitcnt lgkmcnt(0)
	v_lshrrev_b32_e32 v32, 16, v21
	v_mul_f16_sdwa v33, v21, v18 dst_sel:DWORD dst_unused:UNUSED_PAD src0_sel:DWORD src1_sel:WORD_1
	v_fma_f16 v33, v32, v18, v33
	v_sub_f16_e32 v33, v25, v33
	v_fma_f16 v38, v25, 2.0, -v33
	v_lshrrev_b16_e32 v25, 2, v106
	v_mul_u32_u24_e32 v25, 0x147b, v25
	v_lshrrev_b32_e32 v95, 17, v25
	ds_read2_b32 v[29:30], v76 offset1:160
	v_mul_lo_u16_e32 v25, 0x64, v95
	v_mul_f16_sdwa v32, v32, v18 dst_sel:DWORD dst_unused:UNUSED_PAD src0_sel:DWORD src1_sel:WORD_1
	v_sub_u16_e32 v96, v106, v25
	v_fma_f16 v21, v21, v18, -v32
	v_mul_lo_u16_e32 v25, 12, v96
	v_sub_f16_e32 v21, v26, v21
	v_add_co_u32_e32 v25, vcc, s2, v25
	v_fma_f16 v37, v26, 2.0, -v21
	v_addc_co_u32_e32 v26, vcc, 0, v104, vcc
	s_waitcnt lgkmcnt(0)
	v_lshrrev_b32_e32 v32, 16, v29
	global_load_dwordx3 v[34:36], v[25:26], off offset:360
	v_sub_f16_e32 v27, v29, v27
	v_sub_f16_e32 v31, v32, v31
	v_fma_f16 v32, v32, 2.0, -v31
	v_fma_f16 v29, v29, 2.0, -v27
	v_sub_f16_e32 v91, v29, v37
	v_sub_f16_e32 v93, v32, v38
	v_fma_f16 v25, v29, 2.0, -v91
	v_fma_f16 v26, v32, 2.0, -v93
	v_sub_f16_e32 v94, v27, v33
	v_add_f16_e32 v21, v31, v21
	v_pack_b32_f16 v29, v25, v26
	v_fma_f16 v25, v27, 2.0, -v94
	v_fma_f16 v26, v31, 2.0, -v21
	v_pack_b32_f16 v107, v25, v26
	v_mul_lo_u16_e32 v25, 12, v102
	v_add_co_u32_e32 v37, vcc, s2, v25
	v_addc_co_u32_e32 v38, vcc, 0, v104, vcc
	v_mul_lo_u16_e32 v25, 12, v105
	v_add_co_u32_e32 v39, vcc, s2, v25
	v_addc_co_u32_e32 v40, vcc, 0, v104, vcc
	global_load_dwordx3 v[31:33], v[37:38], off offset:360
	global_load_dwordx3 v[25:27], v[39:40], off offset:360
	ds_read2_b32 v[37:38], v80 offset0:64 offset1:224
	ds_read2_b32 v[39:40], v68 offset1:160
	ds_read2_b32 v[41:42], v81 offset0:64 offset1:224
	ds_read2_b32 v[43:44], v72 offset1:160
	ds_read2_b32 v[98:99], v77 offset1:160
	ds_read2_b32 v[100:101], v66 offset0:64 offset1:224
	s_waitcnt vmcnt(0) lgkmcnt(0)
	s_barrier
	ds_write2_b32 v90, v29, v107 offset1:100
	v_pack_b32_f16 v29, v91, v93
	v_pack_b32_f16 v21, v94, v21
	v_add_u32_e32 v91, 0x200, v90
	v_lshrrev_b32_e32 v92, 16, v37
	v_mul_f16_sdwa v93, v37, v22 dst_sel:DWORD dst_unused:UNUSED_PAD src0_sel:DWORD src1_sel:WORD_1
	ds_write2_b32 v91, v29, v21 offset0:72 offset1:172
	v_lshrrev_b32_e32 v21, 16, v28
	v_fma_f16 v93, v92, v22, v93
	v_mul_f16_sdwa v92, v92, v22 dst_sel:DWORD dst_unused:UNUSED_PAD src0_sel:DWORD src1_sel:WORD_1
	v_mul_f16_sdwa v29, v21, v23 dst_sel:DWORD dst_unused:UNUSED_PAD src0_sel:DWORD src1_sel:WORD_1
	v_fma_f16 v37, v37, v22, -v92
	v_lshrrev_b32_e32 v92, 16, v39
	v_mul_f16_sdwa v94, v39, v24 dst_sel:DWORD dst_unused:UNUSED_PAD src0_sel:DWORD src1_sel:WORD_1
	v_fma_f16 v29, v28, v23, -v29
	v_mul_f16_sdwa v28, v28, v23 dst_sel:DWORD dst_unused:UNUSED_PAD src0_sel:DWORD src1_sel:WORD_1
	v_fma_f16 v94, v92, v24, v94
	v_mul_f16_sdwa v92, v92, v24 dst_sel:DWORD dst_unused:UNUSED_PAD src0_sel:DWORD src1_sel:WORD_1
	v_fma_f16 v21, v21, v23, v28
	v_sub_f16_e32 v28, v30, v29
	v_lshrrev_b32_e32 v29, 16, v30
	v_fma_f16 v39, v39, v24, -v92
	v_sub_f16_e32 v21, v29, v21
	v_sub_f16_e32 v39, v37, v39
	;; [unrolled: 1-line block ×3, first 2 shown]
	v_fma_f16 v30, v30, 2.0, -v28
	v_fma_f16 v29, v29, 2.0, -v21
	;; [unrolled: 1-line block ×4, first 2 shown]
	v_sub_f16_e32 v37, v30, v37
	v_sub_f16_e32 v94, v29, v93
	v_fma_f16 v30, v30, 2.0, -v37
	v_fma_f16 v29, v29, 2.0, -v94
	v_pack_b32_f16 v29, v30, v29
	v_sub_f16_e32 v30, v28, v92
	v_add_f16_e32 v39, v21, v39
	v_fma_f16 v28, v28, 2.0, -v30
	v_fma_f16 v21, v21, 2.0, -v39
	v_pack_b32_f16 v21, v28, v21
	v_lshlrev_b32_e32 v93, 2, v45
	ds_write2_b32 v93, v29, v21 offset1:100
	v_pack_b32_f16 v21, v37, v94
	v_pack_b32_f16 v28, v30, v39
	v_add_u32_e32 v94, 0x200, v93
	ds_write2_b32 v94, v21, v28 offset0:72 offset1:172
	v_lshrrev_b32_e32 v21, 16, v38
	v_mul_f16_sdwa v28, v21, v34 dst_sel:DWORD dst_unused:UNUSED_PAD src0_sel:DWORD src1_sel:WORD_1
	v_mul_f16_sdwa v29, v38, v34 dst_sel:DWORD dst_unused:UNUSED_PAD src0_sel:DWORD src1_sel:WORD_1
	v_fma_f16 v28, v38, v34, -v28
	v_fma_f16 v21, v21, v34, v29
	v_lshrrev_b32_e32 v29, 16, v40
	v_lshrrev_b32_e32 v38, 16, v43
	v_mul_f16_sdwa v39, v43, v35 dst_sel:DWORD dst_unused:UNUSED_PAD src0_sel:DWORD src1_sel:WORD_1
	v_mul_f16_sdwa v30, v29, v36 dst_sel:DWORD dst_unused:UNUSED_PAD src0_sel:DWORD src1_sel:WORD_1
	;; [unrolled: 1-line block ×3, first 2 shown]
	v_fma_f16 v39, v38, v35, v39
	v_mul_f16_sdwa v38, v38, v35 dst_sel:DWORD dst_unused:UNUSED_PAD src0_sel:DWORD src1_sel:WORD_1
	v_fma_f16 v30, v40, v36, -v30
	v_fma_f16 v29, v29, v36, v37
	v_fma_f16 v38, v43, v35, -v38
	v_lshrrev_b32_e32 v40, 16, v41
	v_sub_f16_e32 v38, v41, v38
	v_sub_f16_e32 v39, v40, v39
	;; [unrolled: 1-line block ×4, first 2 shown]
	v_fma_f16 v40, v40, 2.0, -v39
	v_fma_f16 v28, v28, 2.0, -v30
	;; [unrolled: 1-line block ×4, first 2 shown]
	v_mad_legacy_u16 v37, v95, s18, v96
	v_sub_f16_e32 v28, v41, v28
	v_sub_f16_e32 v21, v40, v21
	;; [unrolled: 1-line block ×3, first 2 shown]
	v_add_f16_e32 v30, v39, v30
	v_fma_f16 v41, v41, 2.0, -v28
	v_fma_f16 v40, v40, 2.0, -v21
	;; [unrolled: 1-line block ×4, first 2 shown]
	v_lshlrev_b32_e32 v95, 2, v37
	v_pack_b32_f16 v40, v41, v40
	v_pack_b32_f16 v38, v38, v39
	;; [unrolled: 1-line block ×4, first 2 shown]
	v_add_u32_e32 v96, 0x200, v95
	ds_write2_b32 v95, v40, v38 offset1:100
	ds_write2_b32 v96, v21, v28 offset0:72 offset1:172
	v_lshrrev_b32_e32 v21, 16, v44
	v_lshrrev_b32_e32 v38, 16, v98
	v_mul_f16_sdwa v39, v98, v31 dst_sel:DWORD dst_unused:UNUSED_PAD src0_sel:DWORD src1_sel:WORD_1
	v_lshrrev_b32_e32 v40, 16, v100
	v_mul_f16_sdwa v41, v100, v33 dst_sel:DWORD dst_unused:UNUSED_PAD src0_sel:DWORD src1_sel:WORD_1
	v_mul_f16_sdwa v28, v21, v32 dst_sel:DWORD dst_unused:UNUSED_PAD src0_sel:DWORD src1_sel:WORD_1
	;; [unrolled: 1-line block ×3, first 2 shown]
	v_fma_f16 v39, v38, v31, v39
	v_mul_f16_sdwa v38, v38, v31 dst_sel:DWORD dst_unused:UNUSED_PAD src0_sel:DWORD src1_sel:WORD_1
	v_fma_f16 v41, v40, v33, v41
	v_mul_f16_sdwa v40, v40, v33 dst_sel:DWORD dst_unused:UNUSED_PAD src0_sel:DWORD src1_sel:WORD_1
	v_fma_f16 v28, v44, v32, -v28
	v_fma_f16 v21, v21, v32, v29
	v_lshrrev_b32_e32 v29, 16, v42
	v_fma_f16 v38, v98, v31, -v38
	v_fma_f16 v40, v100, v33, -v40
	v_sub_f16_e32 v28, v42, v28
	v_sub_f16_e32 v21, v29, v21
	;; [unrolled: 1-line block ×4, first 2 shown]
	v_fma_f16 v30, v42, 2.0, -v28
	v_fma_f16 v29, v29, 2.0, -v21
	;; [unrolled: 1-line block ×4, first 2 shown]
	v_sub_f16_e32 v38, v30, v38
	v_sub_f16_e32 v39, v29, v39
	v_fma_f16 v30, v30, 2.0, -v38
	v_fma_f16 v29, v29, 2.0, -v39
	v_pack_b32_f16 v29, v30, v29
	v_sub_f16_e32 v30, v28, v41
	v_add_f16_e32 v40, v21, v40
	v_mad_legacy_u16 v37, v97, s18, v102
	v_fma_f16 v28, v28, 2.0, -v30
	v_fma_f16 v21, v21, 2.0, -v40
	v_pack_b32_f16 v21, v28, v21
	v_lshlrev_b32_e32 v97, 2, v37
	ds_write2_b32 v97, v29, v21 offset1:100
	v_pack_b32_f16 v21, v38, v39
	v_pack_b32_f16 v28, v30, v40
	v_add_u32_e32 v98, 0x200, v97
	ds_write2_b32 v98, v21, v28 offset0:72 offset1:172
	v_lshrrev_b32_e32 v21, 16, v99
	v_mul_f16_sdwa v29, v99, v25 dst_sel:DWORD dst_unused:UNUSED_PAD src0_sel:DWORD src1_sel:WORD_1
	v_mul_f16_sdwa v28, v21, v25 dst_sel:DWORD dst_unused:UNUSED_PAD src0_sel:DWORD src1_sel:WORD_1
	v_fma_f16 v21, v21, v25, v29
	v_lshrrev_b32_e32 v29, 16, v20
	v_mul_f16_sdwa v30, v29, v26 dst_sel:DWORD dst_unused:UNUSED_PAD src0_sel:DWORD src1_sel:WORD_1
	v_fma_f16 v30, v20, v26, -v30
	v_mul_f16_sdwa v20, v20, v26 dst_sel:DWORD dst_unused:UNUSED_PAD src0_sel:DWORD src1_sel:WORD_1
	v_fma_f16 v20, v29, v26, v20
	v_lshrrev_b32_e32 v29, 16, v101
	v_mul_f16_sdwa v37, v29, v27 dst_sel:DWORD dst_unused:UNUSED_PAD src0_sel:DWORD src1_sel:WORD_1
	v_mul_f16_sdwa v38, v101, v27 dst_sel:DWORD dst_unused:UNUSED_PAD src0_sel:DWORD src1_sel:WORD_1
	v_fma_f16 v28, v99, v25, -v28
	v_fma_f16 v37, v101, v27, -v37
	v_fma_f16 v29, v29, v27, v38
	v_lshrrev_b32_e32 v38, 16, v19
	v_sub_f16_e32 v30, v19, v30
	v_sub_f16_e32 v20, v38, v20
	;; [unrolled: 1-line block ×4, first 2 shown]
	v_fma_f16 v19, v19, 2.0, -v30
	v_fma_f16 v38, v38, 2.0, -v20
	;; [unrolled: 1-line block ×4, first 2 shown]
	v_mad_legacy_u16 v39, v103, s18, v105
	v_sub_f16_e32 v28, v19, v28
	v_sub_f16_e32 v21, v38, v21
	;; [unrolled: 1-line block ×3, first 2 shown]
	v_add_f16_e32 v37, v20, v37
	v_mad_u64_u32 v[40:41], s[18:19], v74, 12, s[2:3]
	v_fma_f16 v19, v19, 2.0, -v28
	v_fma_f16 v38, v38, 2.0, -v21
	v_fma_f16 v30, v30, 2.0, -v29
	v_fma_f16 v20, v20, 2.0, -v37
	v_pack_b32_f16 v19, v19, v38
	v_pack_b32_f16 v20, v30, v20
	v_lshlrev_b32_e32 v99, 2, v39
	ds_write2_b32 v99, v19, v20 offset1:100
	v_pack_b32_f16 v19, v28, v21
	v_pack_b32_f16 v20, v29, v37
	v_add_u32_e32 v100, 0x200, v99
	ds_write2_b32 v100, v19, v20 offset0:72 offset1:172
	s_waitcnt lgkmcnt(0)
	s_barrier
	global_load_dwordx3 v[19:21], v[40:41], off offset:1560
	global_load_dwordx3 v[28:30], v[40:41], off offset:3480
	ds_read2_b32 v[101:102], v78 offset0:64 offset1:224
	s_movk_i32 s3, 0x50
	v_add_u32_e32 v37, 0xffffffb0, v74
	v_cmp_gt_u16_e32 vcc, s3, v74
	v_cndmask_b32_e32 v92, v37, v106, vcc
	v_mul_i32_i24_e32 v38, 12, v92
	v_mul_hi_i32_i24_e32 v37, 12, v92
	v_add_co_u32_e32 v42, vcc, s2, v38
	s_waitcnt lgkmcnt(0)
	v_lshrrev_b32_e32 v44, 16, v101
	v_addc_co_u32_e32 v43, vcc, v104, v37, vcc
	global_load_dwordx3 v[37:39], v[40:41], off offset:2520
	ds_read2_b32 v[105:106], v76 offset1:160
	s_movk_i32 s3, 0x4f
	s_waitcnt lgkmcnt(0)
	v_lshrrev_b32_e32 v118, 16, v106
	s_waitcnt vmcnt(2)
	v_mul_f16_sdwa v45, v101, v20 dst_sel:DWORD dst_unused:UNUSED_PAD src0_sel:DWORD src1_sel:WORD_1
	v_fma_f16 v103, v44, v20, v45
	v_mul_f16_sdwa v44, v44, v20 dst_sel:DWORD dst_unused:UNUSED_PAD src0_sel:DWORD src1_sel:WORD_1
	v_fma_f16 v101, v101, v20, -v44
	global_load_dwordx3 v[43:45], v[42:43], off offset:1560
	v_lshrrev_b32_e32 v42, 16, v102
	s_waitcnt vmcnt(2)
	v_mul_f16_sdwa v107, v42, v29 dst_sel:DWORD dst_unused:UNUSED_PAD src0_sel:DWORD src1_sel:WORD_1
	v_fma_f16 v107, v102, v29, -v107
	v_mul_f16_sdwa v102, v102, v29 dst_sel:DWORD dst_unused:UNUSED_PAD src0_sel:DWORD src1_sel:WORD_1
	v_fma_f16 v116, v42, v29, v102
	v_sub_f16_e32 v108, v105, v101
	ds_read2_b32 v[101:102], v79 offset1:160
	v_sub_f16_e32 v117, v106, v107
	v_lshrrev_b32_e32 v107, 16, v105
	v_fma_f16 v109, v105, 2.0, -v108
	v_fma_f16 v119, v106, 2.0, -v117
	ds_read2_b32 v[105:106], v70 offset0:64 offset1:224
	s_waitcnt lgkmcnt(1)
	v_lshrrev_b32_e32 v42, 16, v102
	v_mul_f16_sdwa v110, v102, v19 dst_sel:DWORD dst_unused:UNUSED_PAD src0_sel:DWORD src1_sel:WORD_1
	v_add_co_u32_e32 v40, vcc, s16, v40
	v_fma_f16 v110, v42, v19, v110
	v_mul_f16_sdwa v42, v42, v19 dst_sel:DWORD dst_unused:UNUSED_PAD src0_sel:DWORD src1_sel:WORD_1
	v_addc_co_u32_e32 v41, vcc, 0, v41, vcc
	v_fma_f16 v102, v102, v19, -v42
	s_waitcnt lgkmcnt(0)
	v_lshrrev_b32_e32 v42, 16, v106
	v_mul_f16_sdwa v111, v106, v21 dst_sel:DWORD dst_unused:UNUSED_PAD src0_sel:DWORD src1_sel:WORD_1
	v_fma_f16 v111, v42, v21, v111
	v_mul_f16_sdwa v112, v42, v21 dst_sel:DWORD dst_unused:UNUSED_PAD src0_sel:DWORD src1_sel:WORD_1
	global_load_dwordx3 v[40:42], v[40:41], off offset:344
	v_fma_f16 v106, v106, v21, -v112
	v_sub_f16_e32 v103, v107, v103
	v_sub_f16_e32 v106, v102, v106
	;; [unrolled: 1-line block ×3, first 2 shown]
	v_fma_f16 v107, v107, 2.0, -v103
	v_fma_f16 v102, v102, 2.0, -v106
	;; [unrolled: 1-line block ×3, first 2 shown]
	v_sub_f16_e32 v120, v109, v102
	v_sub_f16_e32 v121, v107, v110
	v_fma_f16 v102, v109, 2.0, -v120
	v_fma_f16 v107, v107, 2.0, -v121
	v_sub_f16_e32 v123, v108, v111
	v_add_f16_e32 v124, v103, v106
	v_pack_b32_f16 v122, v102, v107
	v_fma_f16 v102, v108, 2.0, -v123
	v_fma_f16 v103, v103, 2.0, -v124
	v_pack_b32_f16 v120, v120, v121
	v_pack_b32_f16 v125, v102, v103
	ds_read2_b32 v[102:103], v80 offset0:64 offset1:224
	ds_read2_b32 v[106:107], v68 offset1:160
	ds_read2_b32 v[108:109], v81 offset0:64 offset1:224
	ds_read2_b32 v[110:111], v72 offset1:160
	ds_read2_b32 v[112:113], v77 offset1:160
	ds_read2_b32 v[114:115], v66 offset0:64 offset1:224
	s_waitcnt vmcnt(0) lgkmcnt(0)
	s_barrier
	ds_write_b32 v76, v120 offset:3200
	v_pack_b32_f16 v120, v123, v124
	ds_write_b32 v76, v120 offset:4800
	v_lshrrev_b32_e32 v120, 16, v102
	v_mul_f16_sdwa v121, v102, v28 dst_sel:DWORD dst_unused:UNUSED_PAD src0_sel:DWORD src1_sel:WORD_1
	v_fma_f16 v121, v120, v28, v121
	v_mul_f16_sdwa v120, v120, v28 dst_sel:DWORD dst_unused:UNUSED_PAD src0_sel:DWORD src1_sel:WORD_1
	v_fma_f16 v102, v102, v28, -v120
	v_lshrrev_b32_e32 v120, 16, v106
	v_mul_f16_sdwa v123, v106, v30 dst_sel:DWORD dst_unused:UNUSED_PAD src0_sel:DWORD src1_sel:WORD_1
	v_fma_f16 v123, v120, v30, v123
	v_mul_f16_sdwa v120, v120, v30 dst_sel:DWORD dst_unused:UNUSED_PAD src0_sel:DWORD src1_sel:WORD_1
	v_fma_f16 v106, v106, v30, -v120
	v_sub_f16_e32 v116, v118, v116
	v_sub_f16_e32 v106, v102, v106
	;; [unrolled: 1-line block ×3, first 2 shown]
	v_fma_f16 v118, v118, 2.0, -v116
	v_fma_f16 v102, v102, 2.0, -v106
	v_fma_f16 v121, v121, 2.0, -v120
	v_sub_f16_e32 v102, v119, v102
	v_sub_f16_e32 v121, v118, v121
	v_fma_f16 v119, v119, 2.0, -v102
	v_fma_f16 v118, v118, 2.0, -v121
	v_pack_b32_f16 v118, v119, v118
	ds_write_b32 v76, v125 offset:1600
	ds_write2_b32 v76, v122, v118 offset1:160
	v_lshrrev_b32_e32 v118, 16, v103
	v_mul_f16_sdwa v125, v112, v37 dst_sel:DWORD dst_unused:UNUSED_PAD src0_sel:DWORD src1_sel:WORD_1
	v_mul_f16_sdwa v128, v114, v39 dst_sel:DWORD dst_unused:UNUSED_PAD src0_sel:DWORD src1_sel:WORD_1
	v_lshrrev_b32_e32 v131, 16, v101
	v_add_f16_e32 v106, v116, v106
	v_mul_f16_sdwa v119, v118, v43 dst_sel:DWORD dst_unused:UNUSED_PAD src0_sel:DWORD src1_sel:WORD_1
	v_fma_f16 v119, v103, v43, -v119
	v_mul_f16_sdwa v103, v103, v43 dst_sel:DWORD dst_unused:UNUSED_PAD src0_sel:DWORD src1_sel:WORD_1
	v_fma_f16 v103, v118, v43, v103
	v_lshrrev_b32_e32 v118, 16, v107
	v_mul_f16_sdwa v122, v118, v45 dst_sel:DWORD dst_unused:UNUSED_PAD src0_sel:DWORD src1_sel:WORD_1
	v_fma_f16 v122, v107, v45, -v122
	v_mul_f16_sdwa v107, v107, v45 dst_sel:DWORD dst_unused:UNUSED_PAD src0_sel:DWORD src1_sel:WORD_1
	v_fma_f16 v107, v118, v45, v107
	v_lshrrev_b32_e32 v118, 16, v110
	v_mul_f16_sdwa v123, v110, v44 dst_sel:DWORD dst_unused:UNUSED_PAD src0_sel:DWORD src1_sel:WORD_1
	v_fma_f16 v123, v118, v44, v123
	v_mul_f16_sdwa v118, v118, v44 dst_sel:DWORD dst_unused:UNUSED_PAD src0_sel:DWORD src1_sel:WORD_1
	v_fma_f16 v110, v110, v44, -v118
	v_lshrrev_b32_e32 v118, 16, v111
	v_mul_f16_sdwa v124, v118, v38 dst_sel:DWORD dst_unused:UNUSED_PAD src0_sel:DWORD src1_sel:WORD_1
	v_fma_f16 v124, v111, v38, -v124
	v_mul_f16_sdwa v111, v111, v38 dst_sel:DWORD dst_unused:UNUSED_PAD src0_sel:DWORD src1_sel:WORD_1
	v_fma_f16 v111, v118, v38, v111
	v_lshrrev_b32_e32 v118, 16, v112
	v_fma_f16 v125, v118, v37, v125
	v_mul_f16_sdwa v118, v118, v37 dst_sel:DWORD dst_unused:UNUSED_PAD src0_sel:DWORD src1_sel:WORD_1
	v_fma_f16 v112, v112, v37, -v118
	v_lshrrev_b32_e32 v118, 16, v113
	v_cmp_lt_u16_e32 vcc, s3, v74
	v_fma_f16 v116, v116, 2.0, -v106
	v_mul_f16_sdwa v126, v118, v40 dst_sel:DWORD dst_unused:UNUSED_PAD src0_sel:DWORD src1_sel:WORD_1
	v_fma_f16 v126, v113, v40, -v126
	v_mul_f16_sdwa v113, v113, v40 dst_sel:DWORD dst_unused:UNUSED_PAD src0_sel:DWORD src1_sel:WORD_1
	v_fma_f16 v113, v118, v40, v113
	v_lshrrev_b32_e32 v118, 16, v105
	v_mul_f16_sdwa v127, v118, v41 dst_sel:DWORD dst_unused:UNUSED_PAD src0_sel:DWORD src1_sel:WORD_1
	v_fma_f16 v127, v105, v41, -v127
	v_mul_f16_sdwa v105, v105, v41 dst_sel:DWORD dst_unused:UNUSED_PAD src0_sel:DWORD src1_sel:WORD_1
	v_fma_f16 v105, v118, v41, v105
	v_lshrrev_b32_e32 v118, 16, v114
	v_fma_f16 v128, v118, v39, v128
	v_mul_f16_sdwa v118, v118, v39 dst_sel:DWORD dst_unused:UNUSED_PAD src0_sel:DWORD src1_sel:WORD_1
	v_sub_f16_e32 v127, v101, v127
	v_fma_f16 v114, v114, v39, -v118
	v_lshrrev_b32_e32 v118, 16, v115
	v_fma_f16 v132, v101, 2.0, -v127
	v_sub_f16_e32 v101, v117, v120
	v_mul_f16_sdwa v129, v118, v42 dst_sel:DWORD dst_unused:UNUSED_PAD src0_sel:DWORD src1_sel:WORD_1
	v_fma_f16 v117, v117, 2.0, -v101
	v_pack_b32_f16 v101, v101, v106
	v_fma_f16 v129, v115, v42, -v129
	v_mul_f16_sdwa v115, v115, v42 dst_sel:DWORD dst_unused:UNUSED_PAD src0_sel:DWORD src1_sel:WORD_1
	ds_write_b32 v76, v101 offset:5440
	v_mov_b32_e32 v101, 0x640
	v_fma_f16 v115, v118, v42, v115
	v_sub_f16_e32 v118, v109, v124
	v_lshrrev_b32_e32 v124, 16, v108
	v_cndmask_b32_e32 v101, 0, v101, vcc
	v_sub_f16_e32 v110, v108, v110
	v_pack_b32_f16 v116, v117, v116
	v_pack_b32_f16 v102, v102, v121
	v_add_lshl_u32 v101, v92, v101, 2
	v_sub_f16_e32 v92, v124, v123
	v_sub_f16_e32 v106, v119, v122
	;; [unrolled: 1-line block ×3, first 2 shown]
	v_fma_f16 v108, v108, 2.0, -v110
	ds_write_b32 v76, v116 offset:2240
	ds_write_b32 v76, v102 offset:3840
	v_fma_f16 v102, v124, 2.0, -v92
	v_fma_f16 v116, v119, 2.0, -v106
	v_fma_f16 v103, v103, 2.0, -v107
	v_sub_f16_e32 v116, v108, v116
	v_sub_f16_e32 v103, v102, v103
	v_fma_f16 v108, v108, 2.0, -v116
	v_fma_f16 v102, v102, 2.0, -v103
	v_pack_b32_f16 v102, v108, v102
	ds_write_b32 v101, v102
	v_sub_f16_e32 v102, v110, v107
	v_add_f16_e32 v106, v92, v106
	v_fma_f16 v107, v110, 2.0, -v102
	v_fma_f16 v92, v92, 2.0, -v106
	v_pack_b32_f16 v92, v107, v92
	ds_write_b32 v101, v92 offset:1600
	v_pack_b32_f16 v92, v116, v103
	v_lshrrev_b32_e32 v130, 16, v109
	ds_write_b32 v101, v92 offset:3200
	v_pack_b32_f16 v92, v102, v106
	ds_write_b32 v101, v92 offset:4800
	v_sub_f16_e32 v92, v130, v111
	v_sub_f16_e32 v103, v112, v114
	;; [unrolled: 1-line block ×3, first 2 shown]
	v_fma_f16 v109, v109, 2.0, -v118
	v_fma_f16 v102, v130, 2.0, -v92
	;; [unrolled: 1-line block ×4, first 2 shown]
	v_sub_f16_e32 v107, v109, v107
	v_sub_f16_e32 v108, v102, v108
	v_fma_f16 v109, v109, 2.0, -v107
	v_fma_f16 v102, v102, 2.0, -v108
	v_sub_f16_e32 v105, v131, v105
	v_sub_f16_e32 v110, v126, v129
	;; [unrolled: 1-line block ×3, first 2 shown]
	v_pack_b32_f16 v109, v109, v102
	v_fma_f16 v102, v131, 2.0, -v105
	v_fma_f16 v112, v126, 2.0, -v110
	;; [unrolled: 1-line block ×3, first 2 shown]
	v_sub_f16_e32 v112, v132, v112
	v_sub_f16_e32 v113, v102, v113
	v_fma_f16 v114, v132, 2.0, -v112
	v_fma_f16 v102, v102, 2.0, -v113
	v_pack_b32_f16 v114, v114, v102
	v_add_u32_e32 v102, 0x1a00, v76
	ds_write2_b32 v102, v109, v114 offset0:16 offset1:176
	v_sub_f16_e32 v106, v118, v106
	v_add_f16_e32 v109, v92, v103
	v_fma_f16 v103, v118, 2.0, -v106
	v_fma_f16 v92, v92, 2.0, -v109
	v_sub_f16_e32 v111, v127, v111
	v_add_f16_e32 v110, v105, v110
	v_pack_b32_f16 v103, v103, v92
	v_fma_f16 v92, v127, 2.0, -v111
	v_fma_f16 v105, v105, 2.0, -v110
	v_pack_b32_f16 v105, v92, v105
	v_add_u32_e32 v92, 0x2000, v76
	ds_write2_b32 v92, v103, v105 offset0:32 offset1:192
	v_pack_b32_f16 v105, v107, v108
	v_pack_b32_f16 v107, v112, v113
	v_add_u32_e32 v103, 0x2600, v76
	ds_write2_b32 v103, v105, v107 offset0:48 offset1:208
	v_pack_b32_f16 v105, v106, v109
	v_add_co_u32_e32 v109, vcc, s2, v76
	v_pack_b32_f16 v106, v111, v110
	v_addc_co_u32_e32 v110, vcc, 0, v104, vcc
	v_add_co_u32_e32 v107, vcc, s16, v109
	v_addc_co_u32_e32 v108, vcc, 0, v110, vcc
	ds_write2_b32 v66, v105, v106 offset0:64 offset1:224
	s_waitcnt lgkmcnt(0)
	s_barrier
	global_load_dword v104, v[107:108], off offset:2264
	global_load_dword v105, v[107:108], off offset:2904
	;; [unrolled: 1-line block ×3, first 2 shown]
	v_add_co_u32_e32 v113, vcc, s17, v109
	v_addc_co_u32_e32 v114, vcc, 0, v110, vcc
	global_load_dword v107, v[113:114], off offset:88
	global_load_dword v108, v[113:114], off offset:728
	ds_read2_b32 v[115:116], v78 offset0:64 offset1:224
	global_load_dword v109, v[113:114], off offset:1368
	global_load_dword v110, v[113:114], off offset:2008
	;; [unrolled: 1-line block ×3, first 2 shown]
	s_mov_b32 s2, 0xb4f2
	s_mov_b32 s3, 0xba79
	s_waitcnt lgkmcnt(0)
	v_lshrrev_b32_e32 v112, 16, v115
	s_waitcnt vmcnt(7)
	v_mul_f16_sdwa v117, v115, v104 dst_sel:DWORD dst_unused:UNUSED_PAD src0_sel:DWORD src1_sel:WORD_1
	v_fma_f16 v119, v112, v104, v117
	ds_read2_b32 v[117:118], v76 offset1:160
	v_mul_f16_sdwa v112, v112, v104 dst_sel:DWORD dst_unused:UNUSED_PAD src0_sel:DWORD src1_sel:WORD_1
	v_fma_f16 v112, v115, v104, -v112
	v_lshrrev_b32_e32 v115, 16, v116
	s_waitcnt vmcnt(6)
	v_mul_f16_sdwa v120, v115, v105 dst_sel:DWORD dst_unused:UNUSED_PAD src0_sel:DWORD src1_sel:WORD_1
	v_fma_f16 v120, v116, v105, -v120
	v_mul_f16_sdwa v116, v116, v105 dst_sel:DWORD dst_unused:UNUSED_PAD src0_sel:DWORD src1_sel:WORD_1
	v_fma_f16 v115, v115, v105, v116
	s_waitcnt lgkmcnt(0)
	v_lshrrev_b32_e32 v116, 16, v117
	v_sub_f16_e32 v112, v117, v112
	v_sub_f16_e32 v119, v116, v119
	;; [unrolled: 1-line block ×3, first 2 shown]
	v_lshrrev_b32_e32 v120, 16, v118
	v_fma_f16 v117, v117, 2.0, -v112
	v_pack_b32_f16 v112, v112, v119
	ds_write_b32 v76, v112 offset:6400
	v_sub_f16_e32 v112, v120, v115
	v_fma_f16 v118, v118, 2.0, -v132
	v_fma_f16 v116, v116, 2.0, -v119
	;; [unrolled: 1-line block ×3, first 2 shown]
	v_pack_b32_f16 v133, v117, v116
	v_pack_b32_f16 v115, v118, v115
	ds_read2_b32 v[116:117], v81 offset0:64 offset1:224
	ds_read2_b32 v[118:119], v72 offset1:160
	ds_read2_b32 v[120:121], v79 offset1:160
	ds_read2_b32 v[122:123], v70 offset0:64 offset1:224
	ds_read2_b32 v[124:125], v80 offset0:64 offset1:224
	ds_read2_b32 v[126:127], v68 offset1:160
	ds_read2_b32 v[128:129], v77 offset1:160
	ds_read2_b32 v[130:131], v66 offset0:64 offset1:224
	ds_write2_b32 v76, v133, v115 offset1:160
	v_pack_b32_f16 v132, v132, v112
	s_waitcnt lgkmcnt(7)
	v_lshrrev_b32_e32 v115, 16, v118
	s_waitcnt vmcnt(5)
	v_mul_f16_sdwa v112, v118, v106 dst_sel:DWORD dst_unused:UNUSED_PAD src0_sel:DWORD src1_sel:WORD_1
	v_fma_f16 v133, v115, v106, v112
	global_load_dword v112, v[113:114], off offset:3288
	v_mul_f16_sdwa v115, v115, v106 dst_sel:DWORD dst_unused:UNUSED_PAD src0_sel:DWORD src1_sel:WORD_1
	global_load_dword v113, v[113:114], off offset:3928
	v_fma_f16 v115, v118, v106, -v115
	v_lshrrev_b32_e32 v134, 16, v116
	v_sub_f16_e32 v118, v116, v115
	v_sub_f16_e32 v133, v134, v133
	v_pack_b32_f16 v135, v118, v133
	v_add_u32_e32 v115, 0x1b00, v76
	ds_write2_b32 v115, v132, v135 offset0:32 offset1:192
	v_lshrrev_b32_e32 v132, 16, v119
	s_waitcnt vmcnt(6)
	v_mul_f16_sdwa v135, v132, v107 dst_sel:DWORD dst_unused:UNUSED_PAD src0_sel:DWORD src1_sel:WORD_1
	v_fma_f16 v114, v119, v107, -v135
	v_mul_f16_sdwa v119, v119, v107 dst_sel:DWORD dst_unused:UNUSED_PAD src0_sel:DWORD src1_sel:WORD_1
	v_fma_f16 v119, v132, v107, v119
	v_fma_f16 v116, v116, 2.0, -v118
	v_lshrrev_b32_e32 v118, 16, v117
	v_sub_f16_e32 v114, v117, v114
	v_sub_f16_e32 v119, v118, v119
	v_fma_f16 v132, v134, 2.0, -v133
	v_fma_f16 v117, v117, 2.0, -v114
	;; [unrolled: 1-line block ×3, first 2 shown]
	v_pack_b32_f16 v116, v116, v132
	v_pack_b32_f16 v117, v117, v118
	ds_write2_b32 v81, v116, v117 offset0:64 offset1:224
	s_waitcnt lgkmcnt(7)
	v_lshrrev_b32_e32 v116, 16, v122
	s_waitcnt vmcnt(5)
	v_mul_f16_sdwa v117, v122, v108 dst_sel:DWORD dst_unused:UNUSED_PAD src0_sel:DWORD src1_sel:WORD_1
	v_fma_f16 v117, v116, v108, v117
	v_mul_f16_sdwa v116, v116, v108 dst_sel:DWORD dst_unused:UNUSED_PAD src0_sel:DWORD src1_sel:WORD_1
	v_fma_f16 v116, v122, v108, -v116
	v_lshrrev_b32_e32 v118, 16, v120
	v_sub_f16_e32 v116, v120, v116
	v_sub_f16_e32 v117, v118, v117
	v_pack_b32_f16 v114, v114, v119
	v_pack_b32_f16 v119, v116, v117
	ds_write2_b32 v92, v114, v119 offset0:32 offset1:192
	v_lshrrev_b32_e32 v114, 16, v123
	s_waitcnt vmcnt(4)
	v_mul_f16_sdwa v119, v114, v109 dst_sel:DWORD dst_unused:UNUSED_PAD src0_sel:DWORD src1_sel:WORD_1
	v_fma_f16 v119, v123, v109, -v119
	v_mul_f16_sdwa v122, v123, v109 dst_sel:DWORD dst_unused:UNUSED_PAD src0_sel:DWORD src1_sel:WORD_1
	v_fma_f16 v114, v114, v109, v122
	v_fma_f16 v117, v118, 2.0, -v117
	v_sub_f16_e32 v118, v121, v119
	v_lshrrev_b32_e32 v119, 16, v121
	v_fma_f16 v116, v120, 2.0, -v116
	v_sub_f16_e32 v114, v119, v114
	v_fma_f16 v120, v121, 2.0, -v118
	v_pack_b32_f16 v116, v116, v117
	v_fma_f16 v117, v119, 2.0, -v114
	v_pack_b32_f16 v117, v120, v117
	ds_write2_b32 v79, v116, v117 offset1:160
	v_pack_b32_f16 v116, v118, v114
	s_waitcnt lgkmcnt(7)
	v_lshrrev_b32_e32 v114, 16, v126
	s_waitcnt vmcnt(3)
	v_mul_f16_sdwa v117, v126, v110 dst_sel:DWORD dst_unused:UNUSED_PAD src0_sel:DWORD src1_sel:WORD_1
	v_fma_f16 v117, v114, v110, v117
	v_mul_f16_sdwa v114, v114, v110 dst_sel:DWORD dst_unused:UNUSED_PAD src0_sel:DWORD src1_sel:WORD_1
	v_fma_f16 v114, v126, v110, -v114
	v_lshrrev_b32_e32 v119, 16, v124
	v_sub_f16_e32 v118, v124, v114
	v_sub_f16_e32 v117, v119, v117
	v_pack_b32_f16 v120, v118, v117
	v_add_u32_e32 v114, 0x2500, v76
	ds_write2_b32 v114, v116, v120 offset0:32 offset1:192
	v_lshrrev_b32_e32 v116, 16, v127
	s_waitcnt vmcnt(2)
	v_mul_f16_sdwa v120, v116, v111 dst_sel:DWORD dst_unused:UNUSED_PAD src0_sel:DWORD src1_sel:WORD_1
	v_fma_f16 v120, v127, v111, -v120
	v_mul_f16_sdwa v121, v127, v111 dst_sel:DWORD dst_unused:UNUSED_PAD src0_sel:DWORD src1_sel:WORD_1
	v_fma_f16 v116, v116, v111, v121
	v_fma_f16 v117, v119, 2.0, -v117
	v_sub_f16_e32 v119, v125, v120
	v_lshrrev_b32_e32 v120, 16, v125
	v_fma_f16 v118, v124, 2.0, -v118
	v_sub_f16_e32 v116, v120, v116
	v_fma_f16 v121, v125, 2.0, -v119
	v_pack_b32_f16 v117, v118, v117
	v_fma_f16 v118, v120, 2.0, -v116
	v_pack_b32_f16 v118, v121, v118
	ds_write2_b32 v80, v117, v118 offset0:64 offset1:224
	v_pack_b32_f16 v117, v119, v116
	s_waitcnt lgkmcnt(7)
	v_lshrrev_b32_e32 v116, 16, v130
	s_waitcnt vmcnt(1)
	v_mul_f16_sdwa v118, v130, v112 dst_sel:DWORD dst_unused:UNUSED_PAD src0_sel:DWORD src1_sel:WORD_1
	v_fma_f16 v118, v116, v112, v118
	v_mul_f16_sdwa v116, v116, v112 dst_sel:DWORD dst_unused:UNUSED_PAD src0_sel:DWORD src1_sel:WORD_1
	v_fma_f16 v116, v130, v112, -v116
	v_lshrrev_b32_e32 v120, 16, v128
	v_sub_f16_e32 v119, v128, v116
	v_sub_f16_e32 v118, v120, v118
	v_pack_b32_f16 v121, v119, v118
	v_add_u32_e32 v116, 0x2a00, v76
	ds_write2_b32 v116, v117, v121 offset0:32 offset1:192
	v_lshrrev_b32_e32 v117, 16, v131
	s_waitcnt vmcnt(0)
	v_mul_f16_sdwa v121, v117, v113 dst_sel:DWORD dst_unused:UNUSED_PAD src0_sel:DWORD src1_sel:WORD_1
	v_fma_f16 v121, v131, v113, -v121
	v_mul_f16_sdwa v122, v131, v113 dst_sel:DWORD dst_unused:UNUSED_PAD src0_sel:DWORD src1_sel:WORD_1
	v_fma_f16 v117, v117, v113, v122
	v_fma_f16 v118, v120, 2.0, -v118
	v_sub_f16_e32 v120, v129, v121
	v_lshrrev_b32_e32 v121, 16, v129
	v_fma_f16 v119, v128, 2.0, -v119
	v_sub_f16_e32 v117, v121, v117
	v_fma_f16 v122, v129, 2.0, -v120
	v_pack_b32_f16 v118, v119, v118
	v_fma_f16 v119, v121, 2.0, -v117
	v_pack_b32_f16 v119, v122, v119
	v_pack_b32_f16 v117, v120, v117
	ds_write2_b32 v77, v118, v119 offset1:160
	ds_write_b32 v76, v117 offset:12160
	s_waitcnt lgkmcnt(0)
	s_barrier
	global_load_dword v121, v76, s[6:7]
	global_load_dword v123, v76, s[6:7] offset:640
	global_load_dword v124, v76, s[6:7] offset:1280
	;; [unrolled: 1-line block ×6, first 2 shown]
	v_mov_b32_e32 v117, s7
	v_add_co_u32_e32 v129, vcc, s6, v76
	v_addc_co_u32_e32 v130, vcc, 0, v117, vcc
	v_add_co_u32_e32 v117, vcc, s16, v129
	v_addc_co_u32_e32 v118, vcc, 0, v130, vcc
	global_load_dword v131, v[117:118], off offset:384
	s_nop 0
	global_load_dword v82, v82, s[6:7]
	ds_read2_b32 v[119:120], v76 offset1:160
	global_load_dword v133, v[117:118], off offset:1664
	global_load_dword v135, v[117:118], off offset:2944
	s_waitcnt lgkmcnt(0)
	v_lshrrev_b32_e32 v122, 16, v119
	v_lshrrev_b32_e32 v134, 16, v120
	global_load_dword v84, v84, s[6:7]
	s_movk_i32 s6, 0x1ff
	s_movk_i32 s7, 0xffe
	s_waitcnt vmcnt(11)
	v_mul_f16_sdwa v132, v119, v121 dst_sel:DWORD dst_unused:UNUSED_PAD src0_sel:DWORD src1_sel:WORD_1
	v_fma_f16 v132, v122, v121, v132
	v_mul_f16_sdwa v122, v122, v121 dst_sel:DWORD dst_unused:UNUSED_PAD src0_sel:DWORD src1_sel:WORD_1
	v_fma_f16 v119, v119, v121, -v122
	v_pack_b32_f16 v119, v119, v132
	global_load_dword v132, v[117:118], off offset:2304
	ds_write_b32 v76, v119
	ds_read2_b32 v[121:122], v81 offset0:64 offset1:224
	s_waitcnt vmcnt(11)
	v_mul_f16_sdwa v119, v134, v123 dst_sel:DWORD dst_unused:UNUSED_PAD src0_sel:DWORD src1_sel:WORD_1
	v_fma_f16 v119, v120, v123, -v119
	v_mul_f16_sdwa v120, v120, v123 dst_sel:DWORD dst_unused:UNUSED_PAD src0_sel:DWORD src1_sel:WORD_1
	v_fma_f16 v120, v134, v123, v120
	s_waitcnt lgkmcnt(0)
	v_lshrrev_b32_e32 v123, 16, v121
	s_waitcnt vmcnt(10)
	v_mul_f16_sdwa v134, v121, v124 dst_sel:DWORD dst_unused:UNUSED_PAD src0_sel:DWORD src1_sel:WORD_1
	v_fma_f16 v134, v123, v124, v134
	v_mul_f16_sdwa v123, v123, v124 dst_sel:DWORD dst_unused:UNUSED_PAD src0_sel:DWORD src1_sel:WORD_1
	v_fma_f16 v121, v121, v124, -v123
	global_load_dword v123, v[117:118], off offset:3584
	v_pack_b32_f16 v121, v121, v134
	v_pack_b32_f16 v119, v119, v120
	v_add_u32_e32 v120, 0x200, v76
	ds_write2_b32 v120, v119, v121 offset0:32 offset1:192
	v_lshrrev_b32_e32 v121, 16, v122
	s_waitcnt vmcnt(10)
	v_mul_f16_sdwa v124, v121, v125 dst_sel:DWORD dst_unused:UNUSED_PAD src0_sel:DWORD src1_sel:WORD_1
	v_add_co_u32_e32 v119, vcc, s17, v129
	v_addc_co_u32_e32 v120, vcc, 0, v130, vcc
	global_load_dword v129, v[119:120], off offset:128
	v_fma_f16 v124, v122, v125, -v124
	v_mul_f16_sdwa v122, v122, v125 dst_sel:DWORD dst_unused:UNUSED_PAD src0_sel:DWORD src1_sel:WORD_1
	v_fma_f16 v121, v121, v125, v122
	global_load_dword v125, v[119:120], off offset:768
	v_pack_b32_f16 v121, v124, v121
	global_load_dword v124, v[119:120], off offset:1408
	ds_read2_b32 v[117:118], v79 offset1:160
	s_waitcnt lgkmcnt(0)
	v_lshrrev_b32_e32 v122, 16, v117
	s_waitcnt vmcnt(12)
	v_mul_f16_sdwa v130, v117, v126 dst_sel:DWORD dst_unused:UNUSED_PAD src0_sel:DWORD src1_sel:WORD_1
	v_fma_f16 v130, v122, v126, v130
	v_mul_f16_sdwa v122, v122, v126 dst_sel:DWORD dst_unused:UNUSED_PAD src0_sel:DWORD src1_sel:WORD_1
	v_fma_f16 v117, v117, v126, -v122
	v_pack_b32_f16 v117, v117, v130
	v_add_u32_e32 v122, 0x700, v76
	ds_write2_b32 v122, v121, v117 offset0:32 offset1:192
	ds_read2_b32 v[121:122], v80 offset0:64 offset1:224
	v_lshrrev_b32_e32 v117, 16, v118
	s_waitcnt vmcnt(11)
	v_mul_f16_sdwa v126, v117, v127 dst_sel:DWORD dst_unused:UNUSED_PAD src0_sel:DWORD src1_sel:WORD_1
	v_fma_f16 v126, v118, v127, -v126
	v_mul_f16_sdwa v118, v118, v127 dst_sel:DWORD dst_unused:UNUSED_PAD src0_sel:DWORD src1_sel:WORD_1
	v_fma_f16 v117, v117, v127, v118
	s_waitcnt lgkmcnt(0)
	v_lshrrev_b32_e32 v118, 16, v121
	s_waitcnt vmcnt(10)
	v_mul_f16_sdwa v127, v121, v128 dst_sel:DWORD dst_unused:UNUSED_PAD src0_sel:DWORD src1_sel:WORD_1
	v_fma_f16 v127, v118, v128, v127
	v_mul_f16_sdwa v118, v118, v128 dst_sel:DWORD dst_unused:UNUSED_PAD src0_sel:DWORD src1_sel:WORD_1
	v_fma_f16 v118, v121, v128, -v118
	global_load_dword v121, v[119:120], off offset:2688
	v_pack_b32_f16 v118, v118, v127
	global_load_dword v127, v[119:120], off offset:3328
	v_pack_b32_f16 v117, v126, v117
	v_add_u32_e32 v126, 0xc00, v76
	ds_write2_b32 v126, v117, v118 offset0:32 offset1:192
	v_lshrrev_b32_e32 v126, 16, v122
	s_waitcnt vmcnt(11)
	v_mul_f16_sdwa v128, v126, v131 dst_sel:DWORD dst_unused:UNUSED_PAD src0_sel:DWORD src1_sel:WORD_1
	v_fma_f16 v128, v122, v131, -v128
	v_mul_f16_sdwa v122, v122, v131 dst_sel:DWORD dst_unused:UNUSED_PAD src0_sel:DWORD src1_sel:WORD_1
	v_fma_f16 v122, v126, v131, v122
	global_load_dword v131, v[119:120], off offset:3968
	ds_read2_b32 v[117:118], v77 offset1:160
	s_waitcnt lgkmcnt(0)
	v_lshrrev_b32_e32 v126, 16, v117
	s_waitcnt vmcnt(11)
	v_mul_f16_sdwa v130, v117, v82 dst_sel:DWORD dst_unused:UNUSED_PAD src0_sel:DWORD src1_sel:WORD_1
	v_mul_f16_sdwa v120, v126, v82 dst_sel:DWORD dst_unused:UNUSED_PAD src0_sel:DWORD src1_sel:WORD_1
	v_fma_f16 v119, v126, v82, v130
	v_fma_f16 v82, v117, v82, -v120
	v_pack_b32_f16 v82, v82, v119
	v_pack_b32_f16 v117, v128, v122
	v_add_u32_e32 v119, 0x1100, v76
	ds_write2_b32 v119, v117, v82 offset0:32 offset1:192
	ds_read2_b32 v[119:120], v78 offset0:64 offset1:224
	v_lshrrev_b32_e32 v82, 16, v118
	s_waitcnt vmcnt(10)
	v_mul_f16_sdwa v117, v82, v133 dst_sel:DWORD dst_unused:UNUSED_PAD src0_sel:DWORD src1_sel:WORD_1
	v_fma_f16 v117, v118, v133, -v117
	v_mul_f16_sdwa v118, v118, v133 dst_sel:DWORD dst_unused:UNUSED_PAD src0_sel:DWORD src1_sel:WORD_1
	v_fma_f16 v82, v82, v133, v118
	s_waitcnt lgkmcnt(0)
	v_lshrrev_b32_e32 v118, 16, v119
	s_waitcnt vmcnt(7)
	v_mul_f16_sdwa v122, v119, v132 dst_sel:DWORD dst_unused:UNUSED_PAD src0_sel:DWORD src1_sel:WORD_1
	v_fma_f16 v122, v118, v132, v122
	v_mul_f16_sdwa v118, v118, v132 dst_sel:DWORD dst_unused:UNUSED_PAD src0_sel:DWORD src1_sel:WORD_1
	v_fma_f16 v118, v119, v132, -v118
	v_pack_b32_f16 v118, v118, v122
	v_pack_b32_f16 v82, v117, v82
	v_add_u32_e32 v117, 0x1600, v76
	ds_write2_b32 v117, v82, v118 offset0:32 offset1:192
	ds_read2_b32 v[117:118], v72 offset1:160
	v_lshrrev_b32_e32 v82, 16, v120
	v_mul_f16_sdwa v119, v82, v135 dst_sel:DWORD dst_unused:UNUSED_PAD src0_sel:DWORD src1_sel:WORD_1
	v_fma_f16 v119, v120, v135, -v119
	v_mul_f16_sdwa v120, v120, v135 dst_sel:DWORD dst_unused:UNUSED_PAD src0_sel:DWORD src1_sel:WORD_1
	v_fma_f16 v82, v82, v135, v120
	s_waitcnt lgkmcnt(0)
	v_lshrrev_b32_e32 v120, 16, v117
	s_waitcnt vmcnt(6)
	v_mul_f16_sdwa v122, v117, v123 dst_sel:DWORD dst_unused:UNUSED_PAD src0_sel:DWORD src1_sel:WORD_1
	v_fma_f16 v122, v120, v123, v122
	v_mul_f16_sdwa v120, v120, v123 dst_sel:DWORD dst_unused:UNUSED_PAD src0_sel:DWORD src1_sel:WORD_1
	v_fma_f16 v117, v117, v123, -v120
	v_pack_b32_f16 v82, v119, v82
	ds_read2_b32 v[119:120], v70 offset0:64 offset1:224
	v_pack_b32_f16 v117, v117, v122
	ds_write2_b32 v115, v82, v117 offset0:32 offset1:192
	v_lshrrev_b32_e32 v82, 16, v118
	s_waitcnt vmcnt(5)
	v_mul_f16_sdwa v117, v82, v129 dst_sel:DWORD dst_unused:UNUSED_PAD src0_sel:DWORD src1_sel:WORD_1
	v_fma_f16 v117, v118, v129, -v117
	v_mul_f16_sdwa v118, v118, v129 dst_sel:DWORD dst_unused:UNUSED_PAD src0_sel:DWORD src1_sel:WORD_1
	v_fma_f16 v82, v82, v129, v118
	s_waitcnt lgkmcnt(1)
	v_lshrrev_b32_e32 v118, 16, v119
	s_waitcnt vmcnt(4)
	v_mul_f16_sdwa v122, v119, v125 dst_sel:DWORD dst_unused:UNUSED_PAD src0_sel:DWORD src1_sel:WORD_1
	v_fma_f16 v122, v118, v125, v122
	v_mul_f16_sdwa v118, v118, v125 dst_sel:DWORD dst_unused:UNUSED_PAD src0_sel:DWORD src1_sel:WORD_1
	v_fma_f16 v118, v119, v125, -v118
	v_pack_b32_f16 v118, v118, v122
	v_pack_b32_f16 v82, v117, v82
	ds_write2_b32 v92, v82, v118 offset0:32 offset1:192
	ds_read2_b32 v[117:118], v68 offset1:160
	v_lshrrev_b32_e32 v82, 16, v120
	s_waitcnt vmcnt(3)
	v_mul_f16_sdwa v119, v82, v124 dst_sel:DWORD dst_unused:UNUSED_PAD src0_sel:DWORD src1_sel:WORD_1
	v_fma_f16 v119, v120, v124, -v119
	v_mul_f16_sdwa v120, v120, v124 dst_sel:DWORD dst_unused:UNUSED_PAD src0_sel:DWORD src1_sel:WORD_1
	v_fma_f16 v82, v82, v124, v120
	s_waitcnt lgkmcnt(0)
	v_lshrrev_b32_e32 v120, 16, v117
	v_mul_f16_sdwa v122, v117, v84 dst_sel:DWORD dst_unused:UNUSED_PAD src0_sel:DWORD src1_sel:WORD_1
	v_fma_f16 v122, v120, v84, v122
	v_mul_f16_sdwa v120, v120, v84 dst_sel:DWORD dst_unused:UNUSED_PAD src0_sel:DWORD src1_sel:WORD_1
	v_fma_f16 v84, v117, v84, -v120
	v_pack_b32_f16 v82, v119, v82
	ds_read2_b32 v[119:120], v66 offset0:64 offset1:224
	v_pack_b32_f16 v84, v84, v122
	ds_write2_b32 v114, v82, v84 offset0:32 offset1:192
	v_lshrrev_b32_e32 v82, 16, v118
	s_waitcnt vmcnt(2)
	v_mul_f16_sdwa v84, v82, v121 dst_sel:DWORD dst_unused:UNUSED_PAD src0_sel:DWORD src1_sel:WORD_1
	v_mul_f16_sdwa v117, v118, v121 dst_sel:DWORD dst_unused:UNUSED_PAD src0_sel:DWORD src1_sel:WORD_1
	v_fma_f16 v84, v118, v121, -v84
	v_fma_f16 v82, v82, v121, v117
	s_waitcnt lgkmcnt(1)
	v_lshrrev_b32_e32 v117, 16, v119
	s_waitcnt vmcnt(1)
	v_mul_f16_sdwa v118, v119, v127 dst_sel:DWORD dst_unused:UNUSED_PAD src0_sel:DWORD src1_sel:WORD_1
	v_fma_f16 v118, v117, v127, v118
	v_mul_f16_sdwa v117, v117, v127 dst_sel:DWORD dst_unused:UNUSED_PAD src0_sel:DWORD src1_sel:WORD_1
	v_fma_f16 v117, v119, v127, -v117
	v_pack_b32_f16 v117, v117, v118
	v_pack_b32_f16 v82, v84, v82
	ds_write2_b32 v116, v82, v117 offset0:32 offset1:192
	v_lshrrev_b32_e32 v82, 16, v120
	s_waitcnt vmcnt(0)
	v_mul_f16_sdwa v84, v82, v131 dst_sel:DWORD dst_unused:UNUSED_PAD src0_sel:DWORD src1_sel:WORD_1
	v_mul_f16_sdwa v117, v120, v131 dst_sel:DWORD dst_unused:UNUSED_PAD src0_sel:DWORD src1_sel:WORD_1
	v_fma_f16 v84, v120, v131, -v84
	v_fma_f16 v82, v82, v131, v117
	v_pack_b32_f16 v82, v84, v82
	ds_write_b32 v76, v82 offset:12160
	s_waitcnt lgkmcnt(0)
	s_barrier
	ds_read2_b32 v[117:118], v72 offset1:160
	ds_read2_b32 v[119:120], v68 offset1:160
	;; [unrolled: 1-line block ×5, first 2 shown]
	s_waitcnt lgkmcnt(3)
	v_sub_f16_e32 v82, v117, v119
	s_waitcnt lgkmcnt(2)
	v_sub_f16_sdwa v141, v121, v119 dst_sel:DWORD dst_unused:UNUSED_PAD src0_sel:WORD_1 src1_sel:WORD_1
	s_waitcnt lgkmcnt(1)
	v_sub_f16_e32 v84, v123, v121
	v_add_f16_e32 v82, v84, v82
	v_add_f16_e32 v84, v121, v119
	s_waitcnt lgkmcnt(0)
	v_fma_f16 v84, v84, -0.5, v125
	v_sub_f16_sdwa v142, v123, v117 dst_sel:DWORD dst_unused:UNUSED_PAD src0_sel:WORD_1 src1_sel:WORD_1
	v_fma_f16 v127, v142, s1, v84
	v_fma_f16 v84, v142, s13, v84
	v_fma_f16 v127, v141, s14, v127
	v_fma_f16 v84, v141, s0, v84
	v_fma_f16 v143, v82, s12, v127
	v_fma_f16 v82, v82, s12, v84
	v_sub_f16_sdwa v84, v123, v121 dst_sel:DWORD dst_unused:UNUSED_PAD src0_sel:WORD_1 src1_sel:WORD_1
	v_sub_f16_sdwa v127, v117, v119 dst_sel:DWORD dst_unused:UNUSED_PAD src0_sel:WORD_1 src1_sel:WORD_1
	v_add_f16_e32 v84, v84, v127
	v_lshrrev_b32_e32 v139, 16, v125
	v_add_f16_sdwa v127, v121, v119 dst_sel:DWORD dst_unused:UNUSED_PAD src0_sel:WORD_1 src1_sel:WORD_1
	v_fma_f16 v127, v127, -0.5, v139
	v_sub_f16_e32 v145, v123, v117
	v_sub_f16_e32 v144, v121, v119
	v_fma_f16 v128, v145, s13, v127
	v_fma_f16 v128, v144, s0, v128
	;; [unrolled: 1-line block ×4, first 2 shown]
	ds_read2_b32 v[127:128], v70 offset0:64 offset1:224
	ds_read2_b32 v[129:130], v66 offset0:64 offset1:224
	;; [unrolled: 1-line block ×4, first 2 shown]
	v_fma_f16 v135, v144, s14, v135
	v_fma_f16 v84, v84, s12, v135
	ds_read2_b32 v[135:136], v81 offset0:64 offset1:224
	s_waitcnt lgkmcnt(3)
	v_sub_f16_e32 v137, v127, v129
	s_waitcnt lgkmcnt(1)
	v_sub_f16_e32 v138, v133, v131
	v_add_f16_e32 v137, v138, v137
	v_add_f16_e32 v138, v131, v129
	s_waitcnt lgkmcnt(0)
	v_fma_f16 v138, v138, -0.5, v135
	v_sub_f16_sdwa v148, v133, v127 dst_sel:DWORD dst_unused:UNUSED_PAD src0_sel:WORD_1 src1_sel:WORD_1
	v_sub_f16_sdwa v147, v131, v129 dst_sel:DWORD dst_unused:UNUSED_PAD src0_sel:WORD_1 src1_sel:WORD_1
	v_fma_f16 v140, v148, s1, v138
	v_fma_f16 v138, v148, s13, v138
	;; [unrolled: 1-line block ×6, first 2 shown]
	v_sub_f16_sdwa v138, v133, v131 dst_sel:DWORD dst_unused:UNUSED_PAD src0_sel:WORD_1 src1_sel:WORD_1
	v_sub_f16_sdwa v149, v127, v129 dst_sel:DWORD dst_unused:UNUSED_PAD src0_sel:WORD_1 src1_sel:WORD_1
	v_add_f16_e32 v138, v138, v149
	v_lshrrev_b32_e32 v149, 16, v135
	v_add_f16_sdwa v150, v131, v129 dst_sel:DWORD dst_unused:UNUSED_PAD src0_sel:WORD_1 src1_sel:WORD_1
	v_fma_f16 v150, v150, -0.5, v149
	v_sub_f16_e32 v152, v133, v127
	v_sub_f16_e32 v151, v131, v129
	v_fma_f16 v153, v152, s13, v150
	v_fma_f16 v153, v151, s0, v153
	;; [unrolled: 1-line block ×6, first 2 shown]
	v_mul_f16_e32 v150, 0xbb9c, v153
	v_mul_f16_e32 v153, 0x34f2, v153
	v_fma_f16 v150, v140, s12, v150
	v_fma_f16 v153, v140, s1, v153
	v_mul_f16_e32 v140, 0xbb9c, v138
	v_mul_f16_e32 v138, 0xb4f2, v138
	v_fma_f16 v154, v137, s2, v140
	v_fma_f16 v155, v137, s1, v138
	v_add_f16_e32 v137, v82, v154
	v_add_f16_e32 v138, v84, v155
	v_pack_b32_f16 v138, v137, v138
	v_add_f16_e32 v137, v143, v150
	v_add_f16_e32 v140, v146, v153
	v_pack_b32_f16 v137, v137, v140
	v_sub_f16_e32 v140, v119, v117
	v_sub_f16_e32 v156, v121, v123
	v_add_f16_e32 v156, v156, v140
	v_add_f16_sdwa v140, v123, v117 dst_sel:DWORD dst_unused:UNUSED_PAD src0_sel:WORD_1 src1_sel:WORD_1
	v_fma_f16 v157, v140, -0.5, v139
	v_sub_f16_sdwa v139, v121, v123 dst_sel:DWORD dst_unused:UNUSED_PAD src0_sel:WORD_1 src1_sel:WORD_1
	v_sub_f16_sdwa v140, v119, v117 dst_sel:DWORD dst_unused:UNUSED_PAD src0_sel:WORD_1 src1_sel:WORD_1
	v_add_f16_e32 v158, v139, v140
	v_sub_f16_e32 v139, v129, v127
	v_sub_f16_e32 v140, v131, v133
	v_add_f16_e32 v159, v140, v139
	v_add_f16_sdwa v139, v133, v127 dst_sel:DWORD dst_unused:UNUSED_PAD src0_sel:WORD_1 src1_sel:WORD_1
	v_fma_f16 v149, v139, -0.5, v149
	v_sub_f16_sdwa v139, v131, v133 dst_sel:DWORD dst_unused:UNUSED_PAD src0_sel:WORD_1 src1_sel:WORD_1
	v_sub_f16_sdwa v140, v129, v127 dst_sel:DWORD dst_unused:UNUSED_PAD src0_sel:WORD_1 src1_sel:WORD_1
	v_add_f16_e32 v160, v139, v140
	v_add_f16_e32 v139, v133, v127
	v_fma_f16 v161, v139, -0.5, v135
	v_fma_f16 v140, v151, s1, v149
	v_fma_f16 v139, v147, s13, v161
	v_fma_f16 v140, v152, s0, v140
	v_fma_f16 v139, v148, s14, v139
	v_fma_f16 v140, v160, s12, v140
	v_fma_f16 v139, v159, s12, v139
	v_mul_f16_e32 v162, 0xb8b4, v140
	v_fma_f16 v162, v139, s15, v162
	v_mul_f16_e32 v139, 0x38b4, v139
	v_pk_add_f16 v121, v125, v121
	v_fma_f16 v163, v140, s15, v139
	v_add_f16_e32 v139, v123, v117
	v_pk_add_f16 v121, v121, v123
	v_fma_f16 v164, v139, -0.5, v125
	v_pk_add_f16 v117, v121, v117
	v_fma_f16 v139, v141, s13, v164
	v_pk_add_f16 v117, v117, v119
	v_fma_f16 v119, v144, s1, v157
	;; [unrolled: 2-line block ×3, first 2 shown]
	v_fma_f16 v119, v145, s0, v119
	v_pk_add_f16 v121, v121, v133
	v_fma_f16 v165, v156, s12, v139
	v_fma_f16 v119, v158, s12, v119
	v_pk_add_f16 v121, v121, v127
	v_pk_add_f16 v121, v121, v129
	v_add_f16_e32 v123, v165, v162
	v_add_f16_e32 v125, v119, v163
	v_pack_b32_f16 v140, v123, v125
	v_pk_add_f16 v139, v117, v121
	v_sub_f16_e32 v125, v143, v150
	v_sub_f16_e32 v127, v146, v153
	s_barrier
	ds_write2_b64 v85, v[139:140], v[137:138] offset1:1
	v_pack_b32_f16 v138, v125, v127
	v_fma_f16 v127, v151, s13, v149
	v_sub_f16_e32 v123, v165, v162
	v_sub_f16_e32 v119, v119, v163
	v_fma_f16 v125, v147, s1, v161
	v_fma_f16 v127, v152, s14, v127
	v_pack_b32_f16 v137, v123, v119
	v_fma_f16 v119, v141, s1, v164
	v_fma_f16 v123, v144, s13, v157
	;; [unrolled: 1-line block ×7, first 2 shown]
	v_mul_f16_e32 v129, 0xb8b4, v127
	v_mul_f16_e32 v127, 0xba79, v127
	v_fma_f16 v119, v156, s12, v119
	v_fma_f16 v123, v158, s12, v123
	;; [unrolled: 1-line block ×4, first 2 shown]
	v_pk_add_f16 v140, v117, v121 neg_lo:[0,1] neg_hi:[0,1]
	v_add_f16_e32 v117, v119, v129
	v_add_f16_e32 v121, v123, v125
	v_pack_b32_f16 v139, v117, v121
	v_sub_f16_e32 v82, v82, v154
	v_sub_f16_e32 v84, v84, v155
	ds_write2_b64 v85, v[139:140], v[137:138] offset0:2 offset1:3
	v_pack_b32_f16 v137, v82, v84
	v_pk_add_f16 v82, v126, v122
	v_sub_f16_e32 v117, v119, v129
	v_sub_f16_e32 v119, v123, v125
	v_pk_add_f16 v82, v82, v124
	v_pack_b32_f16 v138, v117, v119
	v_pk_add_f16 v82, v82, v118
	ds_write_b64 v85, v[137:138] offset:32
	v_add_f16_e32 v84, v124, v118
	v_sub_f16_sdwa v119, v124, v118 dst_sel:DWORD dst_unused:UNUSED_PAD src0_sel:WORD_1 src1_sel:WORD_1
	v_sub_f16_e32 v117, v122, v124
	v_sub_f16_e32 v85, v124, v122
	v_add_f16_sdwa v121, v124, v118 dst_sel:DWORD dst_unused:UNUSED_PAD src0_sel:WORD_1 src1_sel:WORD_1
	v_sub_f16_e32 v123, v124, v118
	v_sub_f16_sdwa v125, v122, v124 dst_sel:DWORD dst_unused:UNUSED_PAD src0_sel:WORD_1 src1_sel:WORD_1
	v_sub_f16_sdwa v124, v124, v122 dst_sel:DWORD dst_unused:UNUSED_PAD src0_sel:WORD_1 src1_sel:WORD_1
	;; [unrolled: 1-line block ×3, first 2 shown]
	v_add_f16_e32 v129, v122, v120
	v_sub_f16_e32 v131, v122, v120
	v_add_f16_sdwa v122, v122, v120 dst_sel:DWORD dst_unused:UNUSED_PAD src0_sel:WORD_1 src1_sel:WORD_1
	v_sub_f16_e32 v133, v120, v118
	v_sub_f16_e32 v135, v118, v120
	v_sub_f16_sdwa v137, v120, v118 dst_sel:DWORD dst_unused:UNUSED_PAD src0_sel:WORD_1 src1_sel:WORD_1
	v_sub_f16_sdwa v118, v118, v120 dst_sel:DWORD dst_unused:UNUSED_PAD src0_sel:WORD_1 src1_sel:WORD_1
	v_pk_add_f16 v82, v82, v120
	v_pk_add_f16 v120, v136, v132
	;; [unrolled: 1-line block ×4, first 2 shown]
	v_fma_f16 v129, v129, -0.5, v126
	v_add_f16_e32 v138, v134, v128
	v_sub_f16_sdwa v139, v134, v128 dst_sel:DWORD dst_unused:UNUSED_PAD src0_sel:WORD_1 src1_sel:WORD_1
	v_sub_f16_e32 v140, v132, v134
	v_sub_f16_e32 v141, v134, v132
	v_add_f16_sdwa v142, v134, v128 dst_sel:DWORD dst_unused:UNUSED_PAD src0_sel:WORD_1 src1_sel:WORD_1
	v_sub_f16_e32 v143, v134, v128
	v_sub_f16_sdwa v144, v132, v134 dst_sel:DWORD dst_unused:UNUSED_PAD src0_sel:WORD_1 src1_sel:WORD_1
	v_sub_f16_sdwa v134, v134, v132 dst_sel:DWORD dst_unused:UNUSED_PAD src0_sel:WORD_1 src1_sel:WORD_1
	;; [unrolled: 1-line block ×3, first 2 shown]
	v_add_f16_e32 v146, v132, v130
	v_sub_f16_e32 v147, v132, v130
	v_add_f16_sdwa v132, v132, v130 dst_sel:DWORD dst_unused:UNUSED_PAD src0_sel:WORD_1 src1_sel:WORD_1
	v_sub_f16_e32 v148, v130, v128
	v_sub_f16_e32 v149, v128, v130
	v_sub_f16_sdwa v150, v130, v128 dst_sel:DWORD dst_unused:UNUSED_PAD src0_sel:WORD_1 src1_sel:WORD_1
	v_sub_f16_sdwa v128, v128, v130 dst_sel:DWORD dst_unused:UNUSED_PAD src0_sel:WORD_1 src1_sel:WORD_1
	v_pk_add_f16 v120, v120, v130
	v_fma_f16 v130, v119, s1, v129
	v_fma_f16 v129, v119, s13, v129
	v_add_f16_e32 v85, v85, v135
	v_fma_f16 v130, v127, s14, v130
	v_fma_f16 v129, v127, s0, v129
	v_fma_f16 v135, v84, -0.5, v126
	v_lshrrev_b32_e32 v126, 16, v126
	v_fma_f16 v130, v85, s12, v130
	v_fma_f16 v129, v85, s12, v129
	v_fma_f16 v85, v122, -0.5, v126
	v_add_f16_e32 v84, v124, v118
	v_fma_f16 v118, v123, s13, v85
	v_fma_f16 v85, v123, s1, v85
	v_fma_f16 v85, v131, s14, v85
	v_fma_f16 v118, v131, s0, v118
	v_fma_f16 v124, v84, s12, v85
	v_fma_f16 v85, v146, -0.5, v136
	v_fma_f16 v122, v84, s12, v118
	v_fma_f16 v118, v139, s1, v85
	;; [unrolled: 1-line block ×3, first 2 shown]
	v_add_f16_e32 v84, v141, v149
	v_fma_f16 v118, v145, s14, v118
	v_fma_f16 v85, v145, s0, v85
	v_fma_f16 v138, v138, -0.5, v136
	v_lshrrev_b32_e32 v136, 16, v136
	v_fma_f16 v118, v84, s12, v118
	v_fma_f16 v84, v84, s12, v85
	v_add_f16_e32 v85, v134, v128
	v_fma_f16 v128, v132, -0.5, v136
	v_fma_f16 v132, v143, s13, v128
	v_fma_f16 v132, v147, s0, v132
	;; [unrolled: 1-line block ×6, first 2 shown]
	v_mul_f16_e32 v128, 0xbb9c, v132
	v_mul_f16_e32 v132, 0x34f2, v132
	v_fma_f16 v128, v118, s12, v128
	v_fma_f16 v132, v118, s1, v132
	v_mul_f16_e32 v118, 0xbb9c, v85
	v_mul_f16_e32 v85, 0xb4f2, v85
	v_fma_f16 v134, v84, s2, v118
	v_fma_f16 v141, v84, s1, v85
	v_add_f16_e32 v84, v129, v134
	v_add_f16_e32 v85, v124, v141
	v_pack_b32_f16 v85, v84, v85
	v_add_f16_e32 v84, v130, v128
	v_add_f16_e32 v118, v122, v132
	v_fma_f16 v136, v142, -0.5, v136
	v_pack_b32_f16 v84, v84, v118
	v_fma_f16 v118, v147, s1, v136
	v_add_f16_e32 v133, v117, v133
	v_add_f16_e32 v125, v125, v137
	v_add_f16_e32 v137, v144, v150
	v_fma_f16 v117, v145, s13, v138
	v_fma_f16 v118, v143, s0, v118
	v_fma_f16 v121, v121, -0.5, v126
	v_add_f16_e32 v126, v140, v148
	v_fma_f16 v117, v139, s14, v117
	v_fma_f16 v118, v137, s12, v118
	;; [unrolled: 1-line block ×3, first 2 shown]
	v_mul_f16_e32 v140, 0xb8b4, v118
	v_fma_f16 v140, v117, s15, v140
	v_mul_f16_e32 v117, 0x38b4, v117
	v_fma_f16 v142, v118, s15, v117
	v_fma_f16 v117, v127, s13, v135
	;; [unrolled: 1-line block ×7, first 2 shown]
	v_add_f16_e32 v117, v144, v140
	v_add_f16_e32 v118, v146, v142
	v_pack_b32_f16 v118, v117, v118
	v_pk_add_f16 v117, v82, v120
	ds_write2_b64 v86, v[117:118], v[84:85] offset1:1
	v_sub_f16_e32 v84, v144, v140
	v_sub_f16_e32 v117, v146, v142
	v_pack_b32_f16 v84, v84, v117
	v_fma_f16 v117, v127, s1, v135
	v_fma_f16 v117, v119, s0, v117
	v_sub_f16_e32 v85, v130, v128
	v_sub_f16_e32 v118, v122, v132
	v_fma_f16 v119, v133, s12, v117
	v_fma_f16 v117, v131, s13, v121
	v_pack_b32_f16 v85, v85, v118
	v_fma_f16 v117, v123, s14, v117
	v_fma_f16 v118, v147, s13, v136
	;; [unrolled: 1-line block ×8, first 2 shown]
	v_mul_f16_e32 v122, 0xb8b4, v118
	v_mul_f16_e32 v118, 0xba79, v118
	v_fma_f16 v122, v117, s3, v122
	v_fma_f16 v123, v117, s0, v118
	v_pk_add_f16 v118, v82, v120 neg_lo:[0,1] neg_hi:[0,1]
	v_add_f16_e32 v82, v119, v122
	v_add_f16_e32 v117, v121, v123
	v_pack_b32_f16 v117, v82, v117
	ds_write2_b64 v86, v[117:118], v[84:85] offset0:2 offset1:3
	v_sub_f16_e32 v82, v129, v134
	v_sub_f16_e32 v84, v119, v122
	;; [unrolled: 1-line block ×4, first 2 shown]
	v_pack_b32_f16 v85, v84, v85
	v_pack_b32_f16 v84, v82, v117
	ds_write_b64 v86, v[84:85] offset:32
	s_waitcnt lgkmcnt(0)
	s_barrier
	ds_read2_b32 v[117:118], v81 offset0:64 offset1:224
	ds_read2_b32 v[119:120], v79 offset1:160
	ds_read2_b32 v[121:122], v80 offset0:64 offset1:224
	ds_read2_b32 v[123:124], v77 offset1:160
	s_waitcnt lgkmcnt(3)
	v_lshrrev_b32_e32 v82, 16, v117
	v_mul_f16_sdwa v84, v4, v117 dst_sel:DWORD dst_unused:UNUSED_PAD src0_sel:WORD_1 src1_sel:DWORD
	v_fma_f16 v84, v4, v82, -v84
	v_mul_f16_sdwa v82, v4, v82 dst_sel:DWORD dst_unused:UNUSED_PAD src0_sel:WORD_1 src1_sel:DWORD
	v_fma_f16 v85, v4, v117, v82
	s_waitcnt lgkmcnt(2)
	v_lshrrev_b32_e32 v4, 16, v119
	v_mul_f16_sdwa v82, v5, v119 dst_sel:DWORD dst_unused:UNUSED_PAD src0_sel:WORD_1 src1_sel:DWORD
	v_fma_f16 v125, v5, v4, -v82
	v_mul_f16_sdwa v4, v5, v4 dst_sel:DWORD dst_unused:UNUSED_PAD src0_sel:WORD_1 src1_sel:DWORD
	v_fma_f16 v126, v5, v119, v4
	;; [unrolled: 6-line block ×4, first 2 shown]
	v_lshrrev_b32_e32 v4, 16, v118
	v_mul_f16_sdwa v6, v8, v118 dst_sel:DWORD dst_unused:UNUSED_PAD src0_sel:WORD_1 src1_sel:DWORD
	v_mul_f16_sdwa v5, v8, v4 dst_sel:DWORD dst_unused:UNUSED_PAD src0_sel:WORD_1 src1_sel:DWORD
	v_fma_f16 v4, v8, v4, -v6
	v_lshrrev_b32_e32 v6, 16, v120
	v_fma_f16 v5, v8, v118, v5
	v_mul_f16_sdwa v7, v9, v6 dst_sel:DWORD dst_unused:UNUSED_PAD src0_sel:WORD_1 src1_sel:DWORD
	ds_read2_b32 v[117:118], v78 offset0:64 offset1:224
	v_fma_f16 v82, v9, v120, v7
	v_mul_f16_sdwa v7, v9, v120 dst_sel:DWORD dst_unused:UNUSED_PAD src0_sel:WORD_1 src1_sel:DWORD
	v_fma_f16 v8, v9, v6, -v7
	v_lshrrev_b32_e32 v6, 16, v122
	v_mul_f16_sdwa v9, v10, v122 dst_sel:DWORD dst_unused:UNUSED_PAD src0_sel:WORD_1 src1_sel:DWORD
	v_mul_f16_sdwa v7, v10, v6 dst_sel:DWORD dst_unused:UNUSED_PAD src0_sel:WORD_1 src1_sel:DWORD
	v_fma_f16 v6, v10, v6, -v9
	v_lshrrev_b32_e32 v9, 16, v124
	v_mul_f16_sdwa v119, v11, v124 dst_sel:DWORD dst_unused:UNUSED_PAD src0_sel:WORD_1 src1_sel:DWORD
	v_fma_f16 v7, v10, v122, v7
	v_mul_f16_sdwa v10, v11, v9 dst_sel:DWORD dst_unused:UNUSED_PAD src0_sel:WORD_1 src1_sel:DWORD
	v_fma_f16 v9, v11, v9, -v119
	ds_read2_b32 v[119:120], v72 offset1:160
	v_fma_f16 v10, v11, v124, v10
	s_waitcnt lgkmcnt(1)
	v_lshrrev_b32_e32 v11, 16, v117
	v_mul_f16_sdwa v121, v0, v117 dst_sel:DWORD dst_unused:UNUSED_PAD src0_sel:WORD_1 src1_sel:DWORD
	v_fma_f16 v130, v0, v11, -v121
	ds_read2_b32 v[121:122], v70 offset0:64 offset1:224
	v_mul_f16_sdwa v11, v0, v11 dst_sel:DWORD dst_unused:UNUSED_PAD src0_sel:WORD_1 src1_sel:DWORD
	ds_read2_b32 v[123:124], v68 offset1:160
	v_fma_f16 v131, v0, v117, v11
	s_waitcnt lgkmcnt(2)
	v_lshrrev_b32_e32 v0, 16, v119
	v_mul_f16_sdwa v11, v1, v119 dst_sel:DWORD dst_unused:UNUSED_PAD src0_sel:WORD_1 src1_sel:DWORD
	v_fma_f16 v132, v1, v0, -v11
	v_mul_f16_sdwa v0, v1, v0 dst_sel:DWORD dst_unused:UNUSED_PAD src0_sel:WORD_1 src1_sel:DWORD
	v_fma_f16 v133, v1, v119, v0
	s_waitcnt lgkmcnt(1)
	v_lshrrev_b32_e32 v0, 16, v121
	v_mul_f16_sdwa v1, v2, v121 dst_sel:DWORD dst_unused:UNUSED_PAD src0_sel:WORD_1 src1_sel:DWORD
	v_fma_f16 v134, v2, v0, -v1
	v_mul_f16_sdwa v0, v2, v0 dst_sel:DWORD dst_unused:UNUSED_PAD src0_sel:WORD_1 src1_sel:DWORD
	;; [unrolled: 6-line block ×3, first 2 shown]
	v_fma_f16 v123, v3, v123, v0
	v_lshrrev_b32_e32 v0, 16, v118
	v_mul_f16_sdwa v2, v12, v118 dst_sel:DWORD dst_unused:UNUSED_PAD src0_sel:WORD_1 src1_sel:DWORD
	v_mul_f16_sdwa v1, v12, v0 dst_sel:DWORD dst_unused:UNUSED_PAD src0_sel:WORD_1 src1_sel:DWORD
	v_fma_f16 v0, v12, v0, -v2
	v_lshrrev_b32_e32 v2, 16, v120
	v_fma_f16 v1, v12, v118, v1
	v_mul_f16_sdwa v3, v13, v2 dst_sel:DWORD dst_unused:UNUSED_PAD src0_sel:WORD_1 src1_sel:DWORD
	ds_read2_b32 v[117:118], v66 offset0:64 offset1:224
	v_fma_f16 v12, v13, v120, v3
	v_mul_f16_sdwa v3, v13, v120 dst_sel:DWORD dst_unused:UNUSED_PAD src0_sel:WORD_1 src1_sel:DWORD
	v_fma_f16 v11, v13, v2, -v3
	v_lshrrev_b32_e32 v2, 16, v122
	v_mul_f16_sdwa v13, v14, v122 dst_sel:DWORD dst_unused:UNUSED_PAD src0_sel:WORD_1 src1_sel:DWORD
	v_mul_f16_sdwa v3, v14, v2 dst_sel:DWORD dst_unused:UNUSED_PAD src0_sel:WORD_1 src1_sel:DWORD
	v_fma_f16 v2, v14, v2, -v13
	v_lshrrev_b32_e32 v13, 16, v124
	v_fma_f16 v3, v14, v122, v3
	v_mul_f16_sdwa v14, v15, v13 dst_sel:DWORD dst_unused:UNUSED_PAD src0_sel:WORD_1 src1_sel:DWORD
	v_mul_f16_sdwa v119, v15, v124 dst_sel:DWORD dst_unused:UNUSED_PAD src0_sel:WORD_1 src1_sel:DWORD
	v_fma_f16 v14, v15, v124, v14
	v_fma_f16 v13, v15, v13, -v119
	s_waitcnt lgkmcnt(0)
	v_lshrrev_b32_e32 v15, 16, v117
	v_mul_f16_sdwa v119, v83, v117 dst_sel:DWORD dst_unused:UNUSED_PAD src0_sel:WORD_1 src1_sel:DWORD
	v_fma_f16 v122, v83, v15, -v119
	v_mul_f16_sdwa v15, v83, v15 dst_sel:DWORD dst_unused:UNUSED_PAD src0_sel:WORD_1 src1_sel:DWORD
	v_fma_f16 v15, v83, v117, v15
	v_sub_f16_e32 v83, v126, v129
	v_sub_f16_e32 v117, v123, v133
	v_add_f16_e32 v83, v83, v117
	v_sub_f16_e32 v117, v125, v128
	v_sub_f16_e32 v119, v135, v132
	v_add_f16_e32 v117, v117, v119
	;; [unrolled: 3-line block ×4, first 2 shown]
	v_add_f16_e32 v119, v131, v121
	v_fma_f16 v137, v119, -0.5, v85
	v_sub_f16_e32 v138, v86, v122
	v_fma_f16 v119, v138, s13, v137
	v_sub_f16_e32 v139, v130, v134
	v_fma_f16 v119, v139, s14, v119
	v_fma_f16 v140, v124, s12, v119
	v_add_f16_e32 v119, v130, v134
	v_fma_f16 v141, v119, -0.5, v84
	v_sub_f16_e32 v142, v127, v15
	v_fma_f16 v119, v142, s1, v141
	v_sub_f16_e32 v143, v131, v121
	v_fma_f16 v119, v143, s0, v119
	v_fma_f16 v144, v136, s12, v119
	ds_read2_b32 v[119:120], v76 offset1:160
	v_mul_f16_e32 v145, 0xb8b4, v144
	v_mul_f16_e32 v144, 0x3a79, v144
	v_fma_f16 v145, v140, s15, v145
	v_fma_f16 v140, v140, s0, v144
	s_waitcnt lgkmcnt(0)
	v_lshrrev_b32_e32 v146, 16, v119
	v_add_f16_e32 v144, v119, v126
	v_add_f16_e32 v147, v146, v125
	;; [unrolled: 1-line block ×18, first 2 shown]
	v_pack_b32_f16 v150, v150, v151
	v_add_f16_e32 v151, v129, v133
	v_sub_f16_e32 v156, v126, v123
	v_sub_f16_e32 v158, v129, v133
	;; [unrolled: 1-line block ×3, first 2 shown]
	v_add_f16_e32 v126, v126, v123
	v_fma_f16 v151, v151, -0.5, v119
	v_sub_f16_e32 v154, v128, v132
	v_fma_f16 v119, v126, -0.5, v119
	v_sub_f16_e32 v152, v125, v135
	v_sub_f16_e32 v123, v133, v123
	v_fma_f16 v126, v154, s1, v119
	v_fma_f16 v119, v154, s13, v119
	v_add_f16_e32 v123, v129, v123
	v_fma_f16 v126, v152, s14, v126
	v_fma_f16 v119, v152, s0, v119
	;; [unrolled: 1-line block ×4, first 2 shown]
	v_add_f16_e32 v123, v125, v135
	v_add_f16_e32 v155, v128, v132
	v_fma_f16 v123, v123, -0.5, v146
	v_sub_f16_e32 v125, v128, v125
	v_sub_f16_e32 v128, v132, v135
	v_add_f16_e32 v125, v125, v128
	v_fma_f16 v128, v158, s13, v123
	v_fma_f16 v123, v158, s1, v123
	;; [unrolled: 1-line block ×6, first 2 shown]
	v_add_f16_e32 v125, v127, v15
	v_fma_f16 v85, v125, -0.5, v85
	v_sub_f16_e32 v125, v131, v127
	v_sub_f16_e32 v15, v121, v15
	v_fma_f16 v121, v139, s1, v85
	v_fma_f16 v85, v139, s13, v85
	v_add_f16_e32 v15, v125, v15
	v_fma_f16 v121, v138, s14, v121
	v_fma_f16 v85, v138, s0, v85
	;; [unrolled: 1-line block ×4, first 2 shown]
	v_add_f16_e32 v85, v86, v122
	v_fma_f16 v84, v85, -0.5, v84
	v_sub_f16_e32 v85, v130, v86
	v_sub_f16_e32 v86, v134, v122
	v_add_f16_e32 v85, v85, v86
	v_fma_f16 v86, v143, s13, v84
	v_fma_f16 v86, v142, s0, v86
	;; [unrolled: 1-line block ×6, first 2 shown]
	v_mul_f16_e32 v85, 0xbb9c, v86
	v_mul_f16_e32 v86, 0x34f2, v86
	v_fma_f16 v85, v121, s12, v85
	v_fma_f16 v86, v121, s1, v86
	v_mul_f16_e32 v121, 0xbb9c, v84
	v_mul_f16_e32 v84, 0xb4f2, v84
	v_fma_f16 v121, v15, s2, v121
	v_fma_f16 v15, v15, s1, v84
	v_add_f16_e32 v84, v126, v85
	v_add_f16_e32 v122, v128, v86
	v_pack_b32_f16 v84, v84, v122
	v_add_f16_e32 v122, v119, v121
	v_add_f16_e32 v125, v123, v15
	v_pack_b32_f16 v122, v122, v125
	v_fma_f16 v153, v152, s13, v151
	s_barrier
	ds_write2_b32 v87, v84, v122 offset0:20 offset1:30
	v_fma_f16 v84, v152, s1, v151
	v_fma_f16 v153, v154, s14, v153
	v_fma_f16 v155, v155, -0.5, v146
	v_fma_f16 v84, v154, s0, v84
	v_fma_f16 v153, v83, s12, v153
	;; [unrolled: 1-line block ×15, first 2 shown]
	v_mul_f16_e32 v124, 0xb8b4, v122
	v_mul_f16_e32 v122, 0xba79, v122
	v_fma_f16 v124, v117, s3, v124
	v_fma_f16 v117, v117, s0, v122
	v_sub_f16_e32 v122, v144, v148
	v_sub_f16_e32 v125, v147, v149
	v_add_f16_e32 v127, v83, v124
	v_add_f16_e32 v129, v84, v117
	v_pack_b32_f16 v127, v127, v129
	v_pack_b32_f16 v122, v122, v125
	ds_write2_b32 v87, v127, v122 offset0:40 offset1:50
	v_sub_f16_e32 v122, v153, v145
	v_sub_f16_e32 v85, v126, v85
	;; [unrolled: 1-line block ×4, first 2 shown]
	v_pack_b32_f16 v122, v122, v125
	v_pack_b32_f16 v85, v85, v86
	ds_write2_b32 v87, v122, v85 offset0:60 offset1:70
	v_sub_f16_e32 v85, v119, v121
	v_sub_f16_e32 v83, v83, v124
	;; [unrolled: 1-line block ×4, first 2 shown]
	v_pack_b32_f16 v15, v85, v15
	v_pack_b32_f16 v83, v83, v84
	ds_write2_b32 v87, v15, v83 offset0:80 offset1:90
	v_lshrrev_b32_e32 v15, 16, v118
	v_mul_f16_sdwa v83, v88, v15 dst_sel:DWORD dst_unused:UNUSED_PAD src0_sel:WORD_1 src1_sel:DWORD
	v_mul_f16_sdwa v84, v88, v118 dst_sel:DWORD dst_unused:UNUSED_PAD src0_sel:WORD_1 src1_sel:DWORD
	v_fma_f16 v83, v88, v118, v83
	v_fma_f16 v15, v88, v15, -v84
	v_sub_f16_e32 v88, v82, v10
	v_sub_f16_e32 v117, v14, v12
	v_add_f16_e32 v159, v153, v145
	v_add_f16_e32 v160, v157, v140
	;; [unrolled: 1-line block ×3, first 2 shown]
	v_sub_f16_e32 v117, v8, v9
	v_sub_f16_e32 v118, v13, v11
	v_pack_b32_f16 v159, v159, v160
	v_add_f16_e32 v84, v10, v12
	v_add_f16_e32 v85, v82, v14
	;; [unrolled: 1-line block ×3, first 2 shown]
	v_sub_f16_e32 v118, v7, v1
	v_sub_f16_e32 v119, v83, v3
	ds_write2_b32 v87, v150, v159 offset1:10
	v_fma_f16 v84, v84, -0.5, v120
	v_fma_f16 v85, v85, -0.5, v120
	v_lshrrev_b32_e32 v86, 16, v120
	v_add_f16_e32 v87, v120, v82
	v_add_f16_e32 v118, v118, v119
	v_sub_f16_e32 v119, v6, v0
	v_sub_f16_e32 v120, v15, v2
	v_add_f16_e32 v124, v0, v2
	v_add_f16_e32 v119, v119, v120
	;; [unrolled: 1-line block ×3, first 2 shown]
	v_fma_f16 v124, v124, -0.5, v4
	v_sub_f16_e32 v125, v7, v83
	v_fma_f16 v120, v120, -0.5, v5
	v_sub_f16_e32 v121, v6, v15
	v_fma_f16 v126, v125, s1, v124
	v_sub_f16_e32 v127, v1, v3
	v_fma_f16 v122, v121, s13, v120
	;; [unrolled: 2-line block ×3, first 2 shown]
	v_fma_f16 v122, v123, s14, v122
	v_fma_f16 v126, v119, s12, v126
	;; [unrolled: 1-line block ×3, first 2 shown]
	v_mul_f16_e32 v128, 0xb8b4, v126
	v_mul_f16_e32 v126, 0x3a79, v126
	v_fma_f16 v128, v122, s15, v128
	v_fma_f16 v122, v122, s0, v126
	v_add_f16_e32 v126, v86, v8
	v_add_f16_e32 v129, v5, v7
	v_add_f16_e32 v130, v4, v6
	v_add_f16_e32 v87, v87, v10
	v_add_f16_e32 v126, v126, v9
	v_add_f16_e32 v129, v129, v1
	v_add_f16_e32 v130, v130, v0
	v_add_f16_e32 v87, v87, v12
	v_add_f16_e32 v126, v126, v11
	v_add_f16_e32 v129, v129, v3
	v_add_f16_e32 v130, v130, v2
	v_add_f16_e32 v87, v87, v14
	v_add_f16_e32 v126, v126, v13
	v_add_f16_e32 v129, v129, v83
	v_add_f16_e32 v130, v130, v15
	v_add_f16_e32 v131, v87, v129
	v_add_f16_e32 v132, v126, v130
	v_sub_f16_e32 v134, v9, v11
	v_sub_f16_e32 v138, v10, v12
	;; [unrolled: 1-line block ×4, first 2 shown]
	v_pack_b32_f16 v131, v131, v132
	v_sub_f16_e32 v132, v8, v13
	v_sub_f16_e32 v136, v82, v14
	v_add_f16_e32 v10, v10, v12
	v_fma_f16 v12, v134, s1, v85
	v_fma_f16 v14, v134, s13, v85
	;; [unrolled: 1-line block ×6, first 2 shown]
	v_add_f16_e32 v14, v8, v13
	v_add_f16_e32 v135, v9, v11
	v_fma_f16 v14, v14, -0.5, v86
	v_sub_f16_e32 v8, v9, v8
	v_sub_f16_e32 v9, v11, v13
	v_add_f16_e32 v8, v8, v9
	v_fma_f16 v9, v138, s13, v14
	v_fma_f16 v11, v138, s1, v14
	v_fma_f16 v9, v136, s0, v9
	v_fma_f16 v11, v136, s14, v11
	v_fma_f16 v9, v8, s12, v9
	v_fma_f16 v8, v8, s12, v11
	v_add_f16_e32 v11, v7, v83
	v_fma_f16 v5, v11, -0.5, v5
	v_sub_f16_e32 v1, v1, v7
	v_sub_f16_e32 v3, v3, v83
	v_add_f16_e32 v1, v1, v3
	v_fma_f16 v3, v123, s1, v5
	v_fma_f16 v5, v123, s13, v5
	v_fma_f16 v3, v121, s14, v3
	v_fma_f16 v5, v121, s0, v5
	v_fma_f16 v3, v1, s12, v3
	v_fma_f16 v1, v1, s12, v5
	;; [unrolled: 11-line block ×3, first 2 shown]
	v_mul_f16_e32 v4, 0xbb9c, v2
	v_mul_f16_e32 v2, 0x34f2, v2
	v_fma_f16 v4, v3, s12, v4
	v_fma_f16 v2, v3, s1, v2
	v_mul_f16_e32 v3, 0xbb9c, v0
	v_mul_f16_e32 v0, 0xb4f2, v0
	v_fma_f16 v3, v1, s2, v3
	v_fma_f16 v0, v1, s1, v0
	v_add_f16_e32 v1, v12, v4
	v_add_f16_e32 v5, v9, v2
	v_pack_b32_f16 v1, v1, v5
	v_add_f16_e32 v5, v10, v3
	v_add_f16_e32 v6, v8, v0
	v_fma_f16 v7, v125, s13, v124
	v_fma_f16 v135, v135, -0.5, v86
	v_pack_b32_f16 v5, v5, v6
	v_fma_f16 v6, v121, s1, v120
	v_fma_f16 v7, v127, s14, v7
	ds_write2_b32 v89, v1, v5 offset0:20 offset1:30
	v_fma_f16 v1, v132, s1, v84
	v_fma_f16 v5, v136, s13, v135
	v_fma_f16 v6, v123, s0, v6
	v_fma_f16 v7, v119, s12, v7
	v_fma_f16 v1, v134, s0, v1
	v_fma_f16 v5, v138, s14, v5
	v_fma_f16 v6, v118, s12, v6
	v_mul_f16_e32 v11, 0xb8b4, v7
	v_mul_f16_e32 v7, 0xba79, v7
	v_fma_f16 v133, v132, s13, v84
	v_fma_f16 v137, v136, s1, v135
	;; [unrolled: 1-line block ×8, first 2 shown]
	v_sub_f16_e32 v7, v87, v129
	v_sub_f16_e32 v13, v126, v130
	v_add_f16_e32 v14, v1, v11
	v_add_f16_e32 v15, v5, v6
	v_fma_f16 v133, v88, s12, v133
	v_fma_f16 v137, v117, s12, v137
	v_pack_b32_f16 v14, v14, v15
	v_pack_b32_f16 v7, v7, v13
	ds_write2_b32 v89, v14, v7 offset0:40 offset1:50
	v_sub_f16_e32 v7, v133, v128
	v_sub_f16_e32 v4, v12, v4
	;; [unrolled: 1-line block ×4, first 2 shown]
	v_pack_b32_f16 v7, v7, v12
	v_pack_b32_f16 v2, v4, v2
	v_add_f16_e32 v139, v133, v128
	v_add_f16_e32 v140, v137, v122
	ds_write2_b32 v89, v7, v2 offset0:60 offset1:70
	v_sub_f16_e32 v2, v10, v3
	v_sub_f16_e32 v1, v1, v11
	;; [unrolled: 1-line block ×4, first 2 shown]
	v_pack_b32_f16 v139, v139, v140
	v_pack_b32_f16 v0, v2, v0
	;; [unrolled: 1-line block ×3, first 2 shown]
	ds_write2_b32 v89, v131, v139 offset1:10
	ds_write2_b32 v89, v0, v1 offset0:80 offset1:90
	s_waitcnt lgkmcnt(0)
	s_barrier
	ds_read2_b32 v[0:1], v80 offset0:64 offset1:224
	ds_read2_b32 v[2:3], v78 offset0:64 offset1:224
	s_mov_b32 s2, 0x47ae147b
	s_mov_b32 s3, 0x3f347ae1
	s_mul_i32 s12, s9, 0xa00
	s_waitcnt lgkmcnt(1)
	v_lshrrev_b32_e32 v4, 16, v0
	v_mul_f16_sdwa v5, v22, v0 dst_sel:DWORD dst_unused:UNUSED_PAD src0_sel:WORD_1 src1_sel:DWORD
	v_fma_f16 v6, v22, v4, -v5
	v_mul_f16_sdwa v4, v22, v4 dst_sel:DWORD dst_unused:UNUSED_PAD src0_sel:WORD_1 src1_sel:DWORD
	v_fma_f16 v7, v22, v0, v4
	ds_read2_b32 v[4:5], v68 offset1:160
	s_waitcnt lgkmcnt(1)
	v_lshrrev_b32_e32 v0, 16, v3
	v_mul_f16_sdwa v8, v23, v3 dst_sel:DWORD dst_unused:UNUSED_PAD src0_sel:WORD_1 src1_sel:DWORD
	v_fma_f16 v8, v23, v0, -v8
	v_mul_f16_sdwa v0, v23, v0 dst_sel:DWORD dst_unused:UNUSED_PAD src0_sel:WORD_1 src1_sel:DWORD
	v_fma_f16 v9, v23, v3, v0
	s_waitcnt lgkmcnt(0)
	v_lshrrev_b32_e32 v0, 16, v4
	v_mul_f16_sdwa v3, v24, v4 dst_sel:DWORD dst_unused:UNUSED_PAD src0_sel:WORD_1 src1_sel:DWORD
	v_fma_f16 v10, v24, v0, -v3
	v_mul_f16_sdwa v0, v24, v0 dst_sel:DWORD dst_unused:UNUSED_PAD src0_sel:WORD_1 src1_sel:DWORD
	v_fma_f16 v11, v24, v4, v0
	v_lshrrev_b32_e32 v0, 16, v1
	v_mul_f16_sdwa v3, v34, v0 dst_sel:DWORD dst_unused:UNUSED_PAD src0_sel:WORD_1 src1_sel:DWORD
	v_fma_f16 v12, v34, v1, v3
	v_mul_f16_sdwa v1, v34, v1 dst_sel:DWORD dst_unused:UNUSED_PAD src0_sel:WORD_1 src1_sel:DWORD
	v_fma_f16 v13, v34, v0, -v1
	ds_read2_b32 v[0:1], v72 offset1:160
	v_lshrrev_b32_e32 v3, 16, v5
	v_mul_f16_sdwa v4, v36, v3 dst_sel:DWORD dst_unused:UNUSED_PAD src0_sel:WORD_1 src1_sel:DWORD
	v_fma_f16 v14, v36, v5, v4
	v_mul_f16_sdwa v4, v36, v5 dst_sel:DWORD dst_unused:UNUSED_PAD src0_sel:WORD_1 src1_sel:DWORD
	v_fma_f16 v5, v36, v3, -v4
	s_waitcnt lgkmcnt(0)
	v_lshrrev_b32_e32 v3, 16, v0
	v_mul_f16_sdwa v4, v35, v0 dst_sel:DWORD dst_unused:UNUSED_PAD src0_sel:WORD_1 src1_sel:DWORD
	v_fma_f16 v15, v35, v3, -v4
	v_mul_f16_sdwa v3, v35, v3 dst_sel:DWORD dst_unused:UNUSED_PAD src0_sel:WORD_1 src1_sel:DWORD
	v_fma_f16 v22, v35, v0, v3
	v_lshrrev_b32_e32 v0, 16, v1
	ds_read2_b32 v[3:4], v77 offset1:160
	v_mul_f16_sdwa v23, v32, v0 dst_sel:DWORD dst_unused:UNUSED_PAD src0_sel:WORD_1 src1_sel:DWORD
	v_fma_f16 v23, v32, v1, v23
	v_mul_f16_sdwa v1, v32, v1 dst_sel:DWORD dst_unused:UNUSED_PAD src0_sel:WORD_1 src1_sel:DWORD
	v_fma_f16 v24, v32, v0, -v1
	ds_read2_b32 v[0:1], v66 offset0:64 offset1:224
	s_waitcnt lgkmcnt(1)
	v_lshrrev_b32_e32 v32, 16, v3
	v_mul_f16_sdwa v34, v31, v3 dst_sel:DWORD dst_unused:UNUSED_PAD src0_sel:WORD_1 src1_sel:DWORD
	v_fma_f16 v34, v31, v32, -v34
	v_mul_f16_sdwa v32, v31, v32 dst_sel:DWORD dst_unused:UNUSED_PAD src0_sel:WORD_1 src1_sel:DWORD
	v_fma_f16 v31, v31, v3, v32
	s_waitcnt lgkmcnt(0)
	v_lshrrev_b32_e32 v3, 16, v0
	v_mul_f16_sdwa v32, v33, v0 dst_sel:DWORD dst_unused:UNUSED_PAD src0_sel:WORD_1 src1_sel:DWORD
	v_fma_f16 v32, v33, v3, -v32
	v_mul_f16_sdwa v3, v33, v3 dst_sel:DWORD dst_unused:UNUSED_PAD src0_sel:WORD_1 src1_sel:DWORD
	v_fma_f16 v33, v33, v0, v3
	v_lshrrev_b32_e32 v0, 16, v4
	v_mul_f16_sdwa v3, v25, v0 dst_sel:DWORD dst_unused:UNUSED_PAD src0_sel:WORD_1 src1_sel:DWORD
	v_fma_f16 v35, v25, v4, v3
	v_mul_f16_sdwa v3, v25, v4 dst_sel:DWORD dst_unused:UNUSED_PAD src0_sel:WORD_1 src1_sel:DWORD
	v_fma_f16 v25, v25, v0, -v3
	ds_read2_b32 v[3:4], v70 offset0:64 offset1:224
	v_lshrrev_b32_e32 v0, 16, v1
	v_mul_f16_sdwa v36, v27, v0 dst_sel:DWORD dst_unused:UNUSED_PAD src0_sel:WORD_1 src1_sel:DWORD
	v_fma_f16 v36, v27, v1, v36
	v_mul_f16_sdwa v1, v27, v1 dst_sel:DWORD dst_unused:UNUSED_PAD src0_sel:WORD_1 src1_sel:DWORD
	v_fma_f16 v27, v27, v0, -v1
	s_waitcnt lgkmcnt(0)
	v_lshrrev_b32_e32 v0, 16, v3
	v_mul_f16_sdwa v1, v26, v3 dst_sel:DWORD dst_unused:UNUSED_PAD src0_sel:WORD_1 src1_sel:DWORD
	v_fma_f16 v82, v26, v0, -v1
	v_mul_f16_sdwa v0, v26, v0 dst_sel:DWORD dst_unused:UNUSED_PAD src0_sel:WORD_1 src1_sel:DWORD
	v_fma_f16 v26, v26, v3, v0
	v_lshrrev_b32_e32 v0, 16, v2
	v_mul_f16_sdwa v1, v17, v0 dst_sel:DWORD dst_unused:UNUSED_PAD src0_sel:WORD_1 src1_sel:DWORD
	v_fma_f16 v83, v17, v2, v1
	v_mul_f16_sdwa v1, v17, v2 dst_sel:DWORD dst_unused:UNUSED_PAD src0_sel:WORD_1 src1_sel:DWORD
	v_lshrrev_b32_e32 v2, 16, v4
	v_fma_f16 v17, v17, v0, -v1
	ds_read2_b32 v[0:1], v79 offset1:160
	v_mul_f16_sdwa v3, v18, v2 dst_sel:DWORD dst_unused:UNUSED_PAD src0_sel:WORD_1 src1_sel:DWORD
	v_fma_f16 v84, v18, v4, v3
	v_mul_f16_sdwa v3, v18, v4 dst_sel:DWORD dst_unused:UNUSED_PAD src0_sel:WORD_1 src1_sel:DWORD
	v_fma_f16 v4, v18, v2, -v3
	ds_read2_b32 v[2:3], v76 offset1:160
	s_waitcnt lgkmcnt(1)
	v_lshrrev_b32_e32 v18, 16, v1
	v_mul_f16_sdwa v85, v16, v1 dst_sel:DWORD dst_unused:UNUSED_PAD src0_sel:WORD_1 src1_sel:DWORD
	v_fma_f16 v85, v16, v18, -v85
	v_mul_f16_sdwa v18, v16, v18 dst_sel:DWORD dst_unused:UNUSED_PAD src0_sel:WORD_1 src1_sel:DWORD
	v_fma_f16 v1, v16, v1, v18
	s_waitcnt lgkmcnt(0)
	v_lshrrev_b32_e32 v18, 16, v2
	v_sub_f16_e32 v16, v2, v83
	v_sub_f16_e32 v17, v18, v17
	;; [unrolled: 1-line block ×4, first 2 shown]
	v_fma_f16 v18, v18, 2.0, -v17
	v_fma_f16 v1, v1, 2.0, -v83
	;; [unrolled: 1-line block ×4, first 2 shown]
	v_sub_f16_e32 v85, v2, v1
	v_sub_f16_e32 v84, v18, v84
	v_fma_f16 v1, v2, 2.0, -v85
	v_fma_f16 v2, v18, 2.0, -v84
	v_add_f16_e32 v4, v16, v4
	v_sub_f16_e32 v83, v17, v83
	v_pack_b32_f16 v18, v1, v2
	v_fma_f16 v1, v16, 2.0, -v4
	v_fma_f16 v2, v17, 2.0, -v83
	v_pack_b32_f16 v16, v1, v2
	ds_read2_b32 v[1:2], v81 offset0:64 offset1:224
	s_waitcnt lgkmcnt(0)
	s_barrier
	ds_write2_b32 v90, v18, v16 offset1:100
	v_pack_b32_f16 v16, v85, v84
	v_pack_b32_f16 v4, v4, v83
	ds_write2_b32 v91, v16, v4 offset0:72 offset1:172
	v_sub_f16_e32 v4, v3, v9
	v_lshrrev_b32_e32 v9, 16, v3
	v_sub_f16_e32 v8, v9, v8
	v_sub_f16_e32 v11, v7, v11
	v_sub_f16_e32 v10, v6, v10
	v_fma_f16 v3, v3, 2.0, -v4
	v_fma_f16 v9, v9, 2.0, -v8
	v_fma_f16 v7, v7, 2.0, -v11
	v_fma_f16 v6, v6, 2.0, -v10
	v_sub_f16_e32 v7, v3, v7
	v_sub_f16_e32 v6, v9, v6
	v_fma_f16 v3, v3, 2.0, -v7
	v_fma_f16 v9, v9, 2.0, -v6
	v_pack_b32_f16 v3, v3, v9
	v_add_f16_e32 v9, v4, v10
	v_sub_f16_e32 v10, v8, v11
	v_fma_f16 v4, v4, 2.0, -v9
	v_fma_f16 v8, v8, 2.0, -v10
	v_pack_b32_f16 v4, v4, v8
	ds_write2_b32 v93, v3, v4 offset1:100
	v_pack_b32_f16 v3, v7, v6
	v_pack_b32_f16 v4, v9, v10
	ds_write2_b32 v94, v3, v4 offset0:72 offset1:172
	v_lshrrev_b32_e32 v4, 16, v1
	v_sub_f16_e32 v3, v1, v22
	v_sub_f16_e32 v6, v4, v15
	v_sub_f16_e32 v7, v12, v14
	v_sub_f16_e32 v5, v13, v5
	v_fma_f16 v4, v4, 2.0, -v6
	v_fma_f16 v8, v12, 2.0, -v7
	v_fma_f16 v9, v13, 2.0, -v5
	v_fma_f16 v1, v1, 2.0, -v3
	v_sub_f16_e32 v8, v1, v8
	v_sub_f16_e32 v9, v4, v9
	v_fma_f16 v1, v1, 2.0, -v8
	v_fma_f16 v4, v4, 2.0, -v9
	v_pack_b32_f16 v1, v1, v4
	v_add_f16_e32 v4, v3, v5
	v_sub_f16_e32 v5, v6, v7
	v_fma_f16 v3, v3, 2.0, -v4
	v_fma_f16 v6, v6, 2.0, -v5
	v_pack_b32_f16 v3, v3, v6
	ds_write2_b32 v95, v1, v3 offset1:100
	v_pack_b32_f16 v1, v8, v9
	v_pack_b32_f16 v3, v4, v5
	ds_write2_b32 v96, v1, v3 offset0:72 offset1:172
	v_lshrrev_b32_e32 v3, 16, v2
	v_sub_f16_e32 v1, v2, v23
	;; [unrolled: 23-line block ×3, first 2 shown]
	v_sub_f16_e32 v3, v2, v82
	v_sub_f16_e32 v4, v35, v36
	;; [unrolled: 1-line block ×3, first 2 shown]
	v_fma_f16 v0, v0, 2.0, -v1
	v_fma_f16 v2, v2, 2.0, -v3
	;; [unrolled: 1-line block ×4, first 2 shown]
	v_sub_f16_e32 v6, v0, v6
	v_sub_f16_e32 v7, v2, v7
	v_fma_f16 v0, v0, 2.0, -v6
	v_fma_f16 v2, v2, 2.0, -v7
	v_pack_b32_f16 v0, v0, v2
	v_add_f16_e32 v2, v1, v5
	v_sub_f16_e32 v4, v3, v4
	v_fma_f16 v1, v1, 2.0, -v2
	v_fma_f16 v3, v3, 2.0, -v4
	v_pack_b32_f16 v1, v1, v3
	ds_write2_b32 v99, v0, v1 offset1:100
	v_pack_b32_f16 v0, v6, v7
	v_pack_b32_f16 v1, v2, v4
	ds_write2_b32 v100, v0, v1 offset0:72 offset1:172
	s_waitcnt lgkmcnt(0)
	s_barrier
	ds_read2_b32 v[0:1], v80 offset0:64 offset1:224
	ds_read2_b32 v[2:3], v78 offset0:64 offset1:224
	s_waitcnt lgkmcnt(1)
	v_lshrrev_b32_e32 v4, 16, v0
	v_mul_f16_sdwa v5, v28, v0 dst_sel:DWORD dst_unused:UNUSED_PAD src0_sel:WORD_1 src1_sel:DWORD
	v_fma_f16 v6, v28, v4, -v5
	v_mul_f16_sdwa v4, v28, v4 dst_sel:DWORD dst_unused:UNUSED_PAD src0_sel:WORD_1 src1_sel:DWORD
	v_fma_f16 v7, v28, v0, v4
	ds_read2_b32 v[4:5], v68 offset1:160
	s_waitcnt lgkmcnt(1)
	v_lshrrev_b32_e32 v0, 16, v3
	v_mul_f16_sdwa v8, v29, v3 dst_sel:DWORD dst_unused:UNUSED_PAD src0_sel:WORD_1 src1_sel:DWORD
	v_fma_f16 v8, v29, v0, -v8
	v_mul_f16_sdwa v0, v29, v0 dst_sel:DWORD dst_unused:UNUSED_PAD src0_sel:WORD_1 src1_sel:DWORD
	v_fma_f16 v9, v29, v3, v0
	s_waitcnt lgkmcnt(0)
	v_lshrrev_b32_e32 v0, 16, v4
	v_mul_f16_sdwa v3, v30, v4 dst_sel:DWORD dst_unused:UNUSED_PAD src0_sel:WORD_1 src1_sel:DWORD
	v_fma_f16 v10, v30, v0, -v3
	v_mul_f16_sdwa v0, v30, v0 dst_sel:DWORD dst_unused:UNUSED_PAD src0_sel:WORD_1 src1_sel:DWORD
	v_fma_f16 v11, v30, v4, v0
	v_lshrrev_b32_e32 v0, 16, v1
	v_mul_f16_sdwa v3, v43, v0 dst_sel:DWORD dst_unused:UNUSED_PAD src0_sel:WORD_1 src1_sel:DWORD
	v_fma_f16 v12, v43, v1, v3
	v_mul_f16_sdwa v1, v43, v1 dst_sel:DWORD dst_unused:UNUSED_PAD src0_sel:WORD_1 src1_sel:DWORD
	v_fma_f16 v13, v43, v0, -v1
	ds_read2_b32 v[0:1], v72 offset1:160
	v_lshrrev_b32_e32 v3, 16, v5
	v_mul_f16_sdwa v4, v45, v3 dst_sel:DWORD dst_unused:UNUSED_PAD src0_sel:WORD_1 src1_sel:DWORD
	v_fma_f16 v14, v45, v5, v4
	v_mul_f16_sdwa v4, v45, v5 dst_sel:DWORD dst_unused:UNUSED_PAD src0_sel:WORD_1 src1_sel:DWORD
	v_fma_f16 v5, v45, v3, -v4
	s_waitcnt lgkmcnt(0)
	v_lshrrev_b32_e32 v3, 16, v0
	v_mul_f16_sdwa v4, v44, v0 dst_sel:DWORD dst_unused:UNUSED_PAD src0_sel:WORD_1 src1_sel:DWORD
	v_fma_f16 v15, v44, v3, -v4
	v_mul_f16_sdwa v3, v44, v3 dst_sel:DWORD dst_unused:UNUSED_PAD src0_sel:WORD_1 src1_sel:DWORD
	v_fma_f16 v16, v44, v0, v3
	v_lshrrev_b32_e32 v0, 16, v1
	ds_read2_b32 v[3:4], v77 offset1:160
	v_mul_f16_sdwa v17, v38, v0 dst_sel:DWORD dst_unused:UNUSED_PAD src0_sel:WORD_1 src1_sel:DWORD
	v_fma_f16 v17, v38, v1, v17
	v_mul_f16_sdwa v1, v38, v1 dst_sel:DWORD dst_unused:UNUSED_PAD src0_sel:WORD_1 src1_sel:DWORD
	v_fma_f16 v18, v38, v0, -v1
	ds_read2_b32 v[0:1], v66 offset0:64 offset1:224
	s_waitcnt lgkmcnt(1)
	v_lshrrev_b32_e32 v22, 16, v3
	v_mul_f16_sdwa v23, v37, v3 dst_sel:DWORD dst_unused:UNUSED_PAD src0_sel:WORD_1 src1_sel:DWORD
	v_fma_f16 v23, v37, v22, -v23
	v_mul_f16_sdwa v22, v37, v22 dst_sel:DWORD dst_unused:UNUSED_PAD src0_sel:WORD_1 src1_sel:DWORD
	v_fma_f16 v22, v37, v3, v22
	s_waitcnt lgkmcnt(0)
	v_lshrrev_b32_e32 v3, 16, v0
	v_mul_f16_sdwa v24, v39, v0 dst_sel:DWORD dst_unused:UNUSED_PAD src0_sel:WORD_1 src1_sel:DWORD
	v_fma_f16 v24, v39, v3, -v24
	v_mul_f16_sdwa v3, v39, v3 dst_sel:DWORD dst_unused:UNUSED_PAD src0_sel:WORD_1 src1_sel:DWORD
	v_fma_f16 v25, v39, v0, v3
	v_lshrrev_b32_e32 v0, 16, v4
	v_mul_f16_sdwa v3, v40, v0 dst_sel:DWORD dst_unused:UNUSED_PAD src0_sel:WORD_1 src1_sel:DWORD
	v_fma_f16 v26, v40, v4, v3
	v_mul_f16_sdwa v3, v40, v4 dst_sel:DWORD dst_unused:UNUSED_PAD src0_sel:WORD_1 src1_sel:DWORD
	v_fma_f16 v27, v40, v0, -v3
	ds_read2_b32 v[3:4], v70 offset0:64 offset1:224
	v_lshrrev_b32_e32 v0, 16, v1
	v_mul_f16_sdwa v28, v42, v0 dst_sel:DWORD dst_unused:UNUSED_PAD src0_sel:WORD_1 src1_sel:DWORD
	v_fma_f16 v28, v42, v1, v28
	v_mul_f16_sdwa v1, v42, v1 dst_sel:DWORD dst_unused:UNUSED_PAD src0_sel:WORD_1 src1_sel:DWORD
	v_fma_f16 v29, v42, v0, -v1
	s_waitcnt lgkmcnt(0)
	v_lshrrev_b32_e32 v0, 16, v3
	v_mul_f16_sdwa v1, v41, v3 dst_sel:DWORD dst_unused:UNUSED_PAD src0_sel:WORD_1 src1_sel:DWORD
	v_fma_f16 v30, v41, v0, -v1
	v_mul_f16_sdwa v0, v41, v0 dst_sel:DWORD dst_unused:UNUSED_PAD src0_sel:WORD_1 src1_sel:DWORD
	v_fma_f16 v31, v41, v3, v0
	v_lshrrev_b32_e32 v0, 16, v2
	v_mul_f16_sdwa v1, v20, v0 dst_sel:DWORD dst_unused:UNUSED_PAD src0_sel:WORD_1 src1_sel:DWORD
	v_fma_f16 v32, v20, v2, v1
	v_mul_f16_sdwa v1, v20, v2 dst_sel:DWORD dst_unused:UNUSED_PAD src0_sel:WORD_1 src1_sel:DWORD
	v_lshrrev_b32_e32 v2, 16, v4
	v_fma_f16 v20, v20, v0, -v1
	ds_read2_b32 v[0:1], v79 offset1:160
	v_mul_f16_sdwa v3, v21, v2 dst_sel:DWORD dst_unused:UNUSED_PAD src0_sel:WORD_1 src1_sel:DWORD
	v_fma_f16 v33, v21, v4, v3
	v_mul_f16_sdwa v3, v21, v4 dst_sel:DWORD dst_unused:UNUSED_PAD src0_sel:WORD_1 src1_sel:DWORD
	v_fma_f16 v4, v21, v2, -v3
	ds_read2_b32 v[2:3], v76 offset1:160
	s_waitcnt lgkmcnt(1)
	v_lshrrev_b32_e32 v21, 16, v1
	v_mul_f16_sdwa v34, v19, v1 dst_sel:DWORD dst_unused:UNUSED_PAD src0_sel:WORD_1 src1_sel:DWORD
	v_fma_f16 v34, v19, v21, -v34
	v_mul_f16_sdwa v21, v19, v21 dst_sel:DWORD dst_unused:UNUSED_PAD src0_sel:WORD_1 src1_sel:DWORD
	v_fma_f16 v1, v19, v1, v21
	s_waitcnt lgkmcnt(0)
	v_lshrrev_b32_e32 v21, 16, v2
	v_sub_f16_e32 v19, v2, v32
	v_sub_f16_e32 v20, v21, v20
	;; [unrolled: 1-line block ×4, first 2 shown]
	v_fma_f16 v2, v2, 2.0, -v19
	v_fma_f16 v21, v21, 2.0, -v20
	;; [unrolled: 1-line block ×4, first 2 shown]
	v_sub_f16_e32 v35, v2, v1
	v_sub_f16_e32 v34, v21, v34
	v_fma_f16 v1, v2, 2.0, -v35
	v_fma_f16 v2, v21, 2.0, -v34
	v_add_f16_e32 v4, v19, v4
	v_sub_f16_e32 v33, v20, v33
	v_lshrrev_b32_e32 v32, 16, v3
	v_pack_b32_f16 v21, v1, v2
	v_fma_f16 v1, v19, 2.0, -v4
	v_fma_f16 v2, v20, 2.0, -v33
	v_pack_b32_f16 v4, v4, v33
	v_sub_f16_e32 v9, v3, v9
	v_pack_b32_f16 v19, v1, v2
	ds_read2_b32 v[1:2], v81 offset0:64 offset1:224
	s_waitcnt lgkmcnt(0)
	s_barrier
	ds_write_b32 v76, v4 offset:4800
	v_sub_f16_e32 v4, v32, v8
	v_sub_f16_e32 v11, v7, v11
	;; [unrolled: 1-line block ×3, first 2 shown]
	v_fma_f16 v3, v3, 2.0, -v9
	v_fma_f16 v8, v32, 2.0, -v4
	;; [unrolled: 1-line block ×4, first 2 shown]
	v_sub_f16_e32 v7, v3, v7
	v_sub_f16_e32 v6, v8, v6
	v_fma_f16 v3, v3, 2.0, -v7
	v_fma_f16 v8, v8, 2.0, -v6
	ds_write_b32 v76, v19 offset:1600
	v_pack_b32_f16 v19, v35, v34
	v_pack_b32_f16 v3, v3, v8
	ds_write_b32 v76, v19 offset:3200
	ds_write2_b32 v76, v21, v3 offset1:160
	v_add_f16_e32 v3, v9, v10
	v_sub_f16_e32 v8, v4, v11
	v_fma_f16 v9, v9, 2.0, -v3
	v_fma_f16 v4, v4, 2.0, -v8
	v_pack_b32_f16 v4, v9, v4
	ds_write_b32 v76, v4 offset:2240
	v_pack_b32_f16 v4, v7, v6
	ds_write_b32 v76, v4 offset:3840
	v_pack_b32_f16 v3, v3, v8
	v_lshrrev_b32_e32 v4, 16, v1
	ds_write_b32 v76, v3 offset:5440
	v_sub_f16_e32 v3, v1, v16
	v_sub_f16_e32 v6, v4, v15
	;; [unrolled: 1-line block ×4, first 2 shown]
	v_fma_f16 v4, v4, 2.0, -v6
	v_fma_f16 v8, v12, 2.0, -v7
	;; [unrolled: 1-line block ×4, first 2 shown]
	v_sub_f16_e32 v8, v1, v8
	v_sub_f16_e32 v9, v4, v9
	v_fma_f16 v1, v1, 2.0, -v8
	v_fma_f16 v4, v4, 2.0, -v9
	v_pack_b32_f16 v1, v1, v4
	ds_write_b32 v101, v1
	v_add_f16_e32 v1, v3, v5
	v_sub_f16_e32 v4, v6, v7
	v_fma_f16 v3, v3, 2.0, -v1
	v_fma_f16 v5, v6, 2.0, -v4
	v_pack_b32_f16 v3, v3, v5
	ds_write_b32 v101, v3 offset:1600
	v_pack_b32_f16 v3, v8, v9
	ds_write_b32 v101, v3 offset:3200
	v_pack_b32_f16 v1, v1, v4
	v_lshrrev_b32_e32 v3, 16, v2
	ds_write_b32 v101, v1 offset:4800
	v_sub_f16_e32 v1, v2, v17
	v_sub_f16_e32 v6, v3, v18
	;; [unrolled: 1-line block ×4, first 2 shown]
	v_fma_f16 v2, v2, 2.0, -v1
	v_fma_f16 v3, v3, 2.0, -v6
	;; [unrolled: 1-line block ×4, first 2 shown]
	v_sub_f16_e32 v9, v2, v9
	v_sub_f16_e32 v10, v3, v10
	v_lshrrev_b32_e32 v5, 16, v0
	v_fma_f16 v2, v2, 2.0, -v9
	v_fma_f16 v3, v3, 2.0, -v10
	v_sub_f16_e32 v4, v0, v31
	v_pack_b32_f16 v2, v2, v3
	v_sub_f16_e32 v3, v5, v30
	v_sub_f16_e32 v11, v26, v28
	;; [unrolled: 1-line block ×3, first 2 shown]
	v_fma_f16 v0, v0, 2.0, -v4
	v_fma_f16 v5, v5, 2.0, -v3
	;; [unrolled: 1-line block ×4, first 2 shown]
	v_sub_f16_e32 v13, v0, v13
	v_sub_f16_e32 v14, v5, v14
	v_fma_f16 v0, v0, 2.0, -v13
	v_fma_f16 v5, v5, 2.0, -v14
	v_pack_b32_f16 v0, v0, v5
	ds_write2_b32 v102, v2, v0 offset0:16 offset1:176
	v_add_f16_e32 v0, v1, v8
	v_sub_f16_e32 v2, v6, v7
	v_fma_f16 v1, v1, 2.0, -v0
	v_fma_f16 v5, v6, 2.0, -v2
	v_pack_b32_f16 v0, v0, v2
	v_add_f16_e32 v2, v4, v12
	v_sub_f16_e32 v6, v3, v11
	v_fma_f16 v4, v4, 2.0, -v2
	v_fma_f16 v3, v3, 2.0, -v6
	v_pack_b32_f16 v1, v1, v5
	v_pack_b32_f16 v3, v4, v3
	;; [unrolled: 1-line block ×3, first 2 shown]
	ds_write2_b32 v92, v1, v3 offset0:32 offset1:192
	v_pack_b32_f16 v1, v13, v14
	ds_write2_b32 v103, v5, v1 offset0:48 offset1:208
	v_pack_b32_f16 v1, v2, v6
	ds_write2_b32 v66, v0, v1 offset0:64 offset1:224
	s_waitcnt lgkmcnt(0)
	s_barrier
	ds_read2_b32 v[0:1], v76 offset1:160
	ds_read2_b32 v[2:3], v78 offset0:64 offset1:224
	s_waitcnt lgkmcnt(1)
	v_lshrrev_b32_e32 v4, 16, v0
	s_waitcnt lgkmcnt(0)
	v_lshrrev_b32_e32 v5, 16, v2
	v_mul_f16_sdwa v8, v104, v2 dst_sel:DWORD dst_unused:UNUSED_PAD src0_sel:WORD_1 src1_sel:DWORD
	v_lshrrev_b32_e32 v7, 16, v3
	v_fma_f16 v8, v104, v5, -v8
	v_mul_f16_sdwa v5, v104, v5 dst_sel:DWORD dst_unused:UNUSED_PAD src0_sel:WORD_1 src1_sel:DWORD
	v_fma_f16 v5, v104, v2, v5
	v_mul_f16_sdwa v2, v105, v7 dst_sel:DWORD dst_unused:UNUSED_PAD src0_sel:WORD_1 src1_sel:DWORD
	v_fma_f16 v9, v105, v3, v2
	v_sub_f16_e32 v5, v0, v5
	v_sub_f16_e32 v8, v4, v8
	v_fma_f16 v0, v0, 2.0, -v5
	v_fma_f16 v4, v4, 2.0, -v8
	v_sub_f16_e32 v16, v1, v9
	v_lshrrev_b32_e32 v6, 16, v1
	v_mul_f16_sdwa v2, v105, v3 dst_sel:DWORD dst_unused:UNUSED_PAD src0_sel:WORD_1 src1_sel:DWORD
	v_fma_f16 v9, v1, 2.0, -v16
	v_pack_b32_f16 v17, v0, v4
	ds_read2_b32 v[0:1], v72 offset1:160
	v_fma_f16 v7, v105, v7, -v2
	ds_read2_b32 v[2:3], v81 offset0:64 offset1:224
	v_sub_f16_e32 v18, v6, v7
	v_pack_b32_f16 v4, v5, v8
	v_fma_f16 v6, v6, 2.0, -v18
	ds_write_b32 v76, v4 offset:6400
	v_pack_b32_f16 v19, v9, v6
	ds_read2_b32 v[4:5], v79 offset1:160
	ds_read2_b32 v[6:7], v70 offset0:64 offset1:224
	ds_read2_b32 v[8:9], v80 offset0:64 offset1:224
	ds_read2_b32 v[10:11], v68 offset1:160
	ds_read2_b32 v[12:13], v77 offset1:160
	ds_read2_b32 v[14:15], v66 offset0:64 offset1:224
	ds_write2_b32 v76, v17, v19 offset1:160
	s_waitcnt lgkmcnt(9)
	v_lshrrev_b32_e32 v17, 16, v0
	v_mul_f16_sdwa v19, v106, v0 dst_sel:DWORD dst_unused:UNUSED_PAD src0_sel:WORD_1 src1_sel:DWORD
	v_fma_f16 v19, v106, v17, -v19
	v_mul_f16_sdwa v17, v106, v17 dst_sel:DWORD dst_unused:UNUSED_PAD src0_sel:WORD_1 src1_sel:DWORD
	v_fma_f16 v0, v106, v0, v17
	s_waitcnt lgkmcnt(8)
	v_lshrrev_b32_e32 v17, 16, v2
	v_pack_b32_f16 v16, v16, v18
	v_sub_f16_e32 v0, v2, v0
	v_sub_f16_e32 v18, v17, v19
	v_pack_b32_f16 v19, v0, v18
	ds_write2_b32 v115, v16, v19 offset0:32 offset1:192
	v_lshrrev_b32_e32 v16, 16, v1
	v_mul_f16_sdwa v19, v107, v16 dst_sel:DWORD dst_unused:UNUSED_PAD src0_sel:WORD_1 src1_sel:DWORD
	v_fma_f16 v19, v107, v1, v19
	v_mul_f16_sdwa v1, v107, v1 dst_sel:DWORD dst_unused:UNUSED_PAD src0_sel:WORD_1 src1_sel:DWORD
	v_fma_f16 v1, v107, v16, -v1
	v_fma_f16 v16, v17, 2.0, -v18
	v_lshrrev_b32_e32 v17, 16, v3
	v_fma_f16 v0, v2, 2.0, -v0
	v_sub_f16_e32 v2, v3, v19
	v_sub_f16_e32 v1, v17, v1
	v_fma_f16 v3, v3, 2.0, -v2
	v_pack_b32_f16 v0, v0, v16
	v_fma_f16 v16, v17, 2.0, -v1
	v_pack_b32_f16 v3, v3, v16
	ds_write2_b32 v81, v0, v3 offset0:64 offset1:224
	s_waitcnt lgkmcnt(7)
	v_lshrrev_b32_e32 v0, 16, v6
	v_mul_f16_sdwa v3, v108, v6 dst_sel:DWORD dst_unused:UNUSED_PAD src0_sel:WORD_1 src1_sel:DWORD
	v_fma_f16 v3, v108, v0, -v3
	v_mul_f16_sdwa v0, v108, v0 dst_sel:DWORD dst_unused:UNUSED_PAD src0_sel:WORD_1 src1_sel:DWORD
	v_fma_f16 v0, v108, v6, v0
	v_pack_b32_f16 v1, v2, v1
	v_lshrrev_b32_e32 v2, 16, v4
	v_sub_f16_e32 v0, v4, v0
	v_sub_f16_e32 v3, v2, v3
	v_pack_b32_f16 v6, v0, v3
	ds_write2_b32 v92, v1, v6 offset0:32 offset1:192
	v_lshrrev_b32_e32 v1, 16, v7
	v_mul_f16_sdwa v6, v109, v1 dst_sel:DWORD dst_unused:UNUSED_PAD src0_sel:WORD_1 src1_sel:DWORD
	v_fma_f16 v6, v109, v7, v6
	v_mul_f16_sdwa v7, v109, v7 dst_sel:DWORD dst_unused:UNUSED_PAD src0_sel:WORD_1 src1_sel:DWORD
	v_fma_f16 v1, v109, v1, -v7
	s_waitcnt lgkmcnt(6)
	v_lshrrev_b32_e32 v7, 16, v10
	v_mul_f16_sdwa v16, v110, v10 dst_sel:DWORD dst_unused:UNUSED_PAD src0_sel:WORD_1 src1_sel:DWORD
	v_fma_f16 v16, v110, v7, -v16
	v_mul_f16_sdwa v7, v110, v7 dst_sel:DWORD dst_unused:UNUSED_PAD src0_sel:WORD_1 src1_sel:DWORD
	v_fma_f16 v7, v110, v10, v7
	v_lshrrev_b32_e32 v10, 16, v11
	v_mul_f16_sdwa v17, v111, v10 dst_sel:DWORD dst_unused:UNUSED_PAD src0_sel:WORD_1 src1_sel:DWORD
	v_fma_f16 v17, v111, v11, v17
	v_mul_f16_sdwa v11, v111, v11 dst_sel:DWORD dst_unused:UNUSED_PAD src0_sel:WORD_1 src1_sel:DWORD
	v_fma_f16 v10, v111, v10, -v11
	s_waitcnt lgkmcnt(4)
	v_lshrrev_b32_e32 v11, 16, v14
	v_mul_f16_sdwa v18, v112, v14 dst_sel:DWORD dst_unused:UNUSED_PAD src0_sel:WORD_1 src1_sel:DWORD
	v_fma_f16 v18, v112, v11, -v18
	v_mul_f16_sdwa v11, v112, v11 dst_sel:DWORD dst_unused:UNUSED_PAD src0_sel:WORD_1 src1_sel:DWORD
	v_fma_f16 v11, v112, v14, v11
	v_lshrrev_b32_e32 v14, 16, v15
	v_mul_f16_sdwa v19, v113, v14 dst_sel:DWORD dst_unused:UNUSED_PAD src0_sel:WORD_1 src1_sel:DWORD
	v_fma_f16 v19, v113, v15, v19
	v_mul_f16_sdwa v15, v113, v15 dst_sel:DWORD dst_unused:UNUSED_PAD src0_sel:WORD_1 src1_sel:DWORD
	v_fma_f16 v14, v113, v14, -v15
	v_lshrrev_b32_e32 v15, 16, v5
	v_fma_f16 v2, v2, 2.0, -v3
	v_fma_f16 v0, v4, 2.0, -v0
	v_sub_f16_e32 v4, v5, v6
	v_sub_f16_e32 v1, v15, v1
	v_lshrrev_b32_e32 v20, 16, v8
	v_lshrrev_b32_e32 v3, 16, v9
	v_fma_f16 v5, v5, 2.0, -v4
	v_sub_f16_e32 v6, v8, v7
	v_pack_b32_f16 v0, v0, v2
	v_fma_f16 v2, v15, 2.0, -v1
	v_fma_f16 v7, v8, 2.0, -v6
	v_sub_f16_e32 v8, v9, v17
	v_sub_f16_e32 v15, v20, v16
	;; [unrolled: 1-line block ×3, first 2 shown]
	v_pack_b32_f16 v2, v5, v2
	v_fma_f16 v9, v9, 2.0, -v8
	v_lshrrev_b32_e32 v17, 16, v12
	v_lshrrev_b32_e32 v21, 16, v13
	v_fma_f16 v16, v20, 2.0, -v15
	v_fma_f16 v3, v3, 2.0, -v10
	ds_write2_b32 v79, v0, v2 offset1:160
	v_pack_b32_f16 v0, v4, v1
	v_pack_b32_f16 v2, v6, v15
	v_sub_f16_e32 v11, v12, v11
	v_sub_f16_e32 v19, v13, v19
	v_sub_f16_e32 v18, v17, v18
	v_sub_f16_e32 v14, v21, v14
	v_pack_b32_f16 v1, v7, v16
	ds_write2_b32 v114, v0, v2 offset0:32 offset1:192
	v_pack_b32_f16 v0, v9, v3
	v_fma_f16 v12, v12, 2.0, -v11
	v_fma_f16 v13, v13, 2.0, -v19
	;; [unrolled: 1-line block ×4, first 2 shown]
	ds_write2_b32 v80, v1, v0 offset0:64 offset1:224
	v_pack_b32_f16 v0, v8, v10
	v_pack_b32_f16 v2, v11, v18
	;; [unrolled: 1-line block ×3, first 2 shown]
	ds_write2_b32 v116, v0, v2 offset0:32 offset1:192
	v_pack_b32_f16 v0, v13, v20
	ds_write2_b32 v77, v1, v0 offset1:160
	v_pack_b32_f16 v0, v19, v14
	ds_write_b32 v76, v0 offset:12160
	s_waitcnt lgkmcnt(0)
	s_barrier
	ds_read2_b32 v[0:1], v76 offset1:160
	v_mad_u64_u32 v[4:5], s[0:1], s10, v46, 0
	s_movk_i32 s10, 0x40f
	s_waitcnt lgkmcnt(0)
	v_lshrrev_b32_e32 v7, 16, v0
	v_mul_f16_sdwa v2, v75, v7 dst_sel:DWORD dst_unused:UNUSED_PAD src0_sel:WORD_1 src1_sel:DWORD
	v_fma_f16 v2, v75, v0, v2
	v_cvt_f32_f16_e32 v2, v2
	v_mad_u64_u32 v[5:6], s[0:1], s11, v46, v[5:6]
	v_mul_f16_sdwa v0, v75, v0 dst_sel:DWORD dst_unused:UNUSED_PAD src0_sel:WORD_1 src1_sel:DWORD
	v_cvt_f64_f32_e32 v[2:3], v2
	v_fma_f16 v0, v75, v7, -v0
	v_cvt_f32_f16_e32 v7, v0
	v_mov_b32_e32 v0, 0x7c00
	v_mul_f64 v[2:3], v[2:3], s[2:3]
	s_mov_b32 s11, 0x8000
	v_lshlrev_b64 v[4:5], 2, v[4:5]
	v_and_or_b32 v2, v3, s6, v2
	v_cmp_ne_u32_e32 vcc, 0, v2
	v_cndmask_b32_e64 v2, 0, 1, vcc
	v_lshrrev_b32_e32 v6, 8, v3
	v_bfe_u32 v8, v3, 20, 11
	v_and_or_b32 v2, v6, s7, v2
	v_sub_u32_e32 v9, 0x3f1, v8
	v_or_b32_e32 v6, 0x1000, v2
	v_med3_i32 v9, v9, 0, 13
	v_lshrrev_b32_e32 v10, v9, v6
	v_lshlrev_b32_e32 v9, v9, v10
	v_cmp_ne_u32_e32 vcc, v9, v6
	v_cndmask_b32_e64 v6, 0, 1, vcc
	v_add_u32_e32 v8, 0xfffffc10, v8
	v_or_b32_e32 v6, v10, v6
	v_lshl_or_b32 v9, v8, 12, v2
	v_cmp_gt_i32_e32 vcc, 1, v8
	v_cndmask_b32_e32 v6, v9, v6, vcc
	v_and_b32_e32 v9, 7, v6
	v_cmp_lt_i32_e32 vcc, 5, v9
	v_cmp_eq_u32_e64 s[0:1], 3, v9
	v_lshrrev_b32_e32 v6, 2, v6
	s_or_b64 vcc, s[0:1], vcc
	v_addc_co_u32_e32 v9, vcc, 0, v6, vcc
	v_cvt_f64_f32_e32 v[6:7], v7
	v_cmp_gt_i32_e32 vcc, 31, v8
	v_cndmask_b32_e32 v9, v0, v9, vcc
	v_cmp_ne_u32_e32 vcc, 0, v2
	v_mul_f64 v[6:7], v[6:7], s[2:3]
	v_cndmask_b32_e64 v2, 0, 1, vcc
	v_lshl_or_b32 v2, v2, 9, v0
	v_cmp_eq_u32_e32 vcc, s10, v8
	v_cndmask_b32_e32 v2, v9, v2, vcc
	v_lshrrev_b32_e32 v3, 16, v3
	v_and_or_b32 v10, v3, s11, v2
	v_and_b32_e32 v10, 0xffff, v10
	v_and_or_b32 v2, v7, s6, v6
	v_cmp_ne_u32_e32 vcc, 0, v2
	v_cndmask_b32_e64 v2, 0, 1, vcc
	v_lshrrev_b32_e32 v3, 8, v7
	v_bfe_u32 v6, v7, 20, 11
	v_and_or_b32 v2, v3, s7, v2
	v_sub_u32_e32 v8, 0x3f1, v6
	v_or_b32_e32 v3, 0x1000, v2
	v_med3_i32 v8, v8, 0, 13
	v_lshrrev_b32_e32 v9, v8, v3
	v_lshlrev_b32_e32 v8, v8, v9
	v_cmp_ne_u32_e32 vcc, v8, v3
	v_cndmask_b32_e64 v3, 0, 1, vcc
	v_add_u32_e32 v6, 0xfffffc10, v6
	v_or_b32_e32 v3, v9, v3
	v_lshl_or_b32 v8, v6, 12, v2
	v_cmp_gt_i32_e32 vcc, 1, v6
	v_cndmask_b32_e32 v3, v8, v3, vcc
	v_and_b32_e32 v8, 7, v3
	v_cmp_lt_i32_e32 vcc, 5, v8
	v_cmp_eq_u32_e64 s[0:1], 3, v8
	v_lshrrev_b32_e32 v3, 2, v3
	s_or_b64 vcc, s[0:1], vcc
	v_addc_co_u32_e32 v3, vcc, 0, v3, vcc
	v_cmp_gt_i32_e32 vcc, 31, v6
	v_cndmask_b32_e32 v3, v0, v3, vcc
	v_cmp_ne_u32_e32 vcc, 0, v2
	v_cndmask_b32_e64 v2, 0, 1, vcc
	v_lshl_or_b32 v2, v2, 9, v0
	v_cmp_eq_u32_e32 vcc, s10, v6
	v_mad_u64_u32 v[8:9], s[0:1], s8, v74, 0
	v_cndmask_b32_e32 v11, v3, v2, vcc
	ds_read2_b32 v[2:3], v81 offset0:64 offset1:224
	v_mov_b32_e32 v6, v9
	v_lshrrev_b32_e32 v12, 16, v7
	v_mad_u64_u32 v[6:7], s[0:1], s9, v74, v[6:7]
	s_waitcnt lgkmcnt(0)
	v_lshrrev_b32_e32 v13, 16, v2
	v_mul_f16_sdwa v7, v73, v13 dst_sel:DWORD dst_unused:UNUSED_PAD src0_sel:WORD_1 src1_sel:DWORD
	v_fma_f16 v7, v73, v2, v7
	v_cvt_f32_f16_e32 v7, v7
	v_mov_b32_e32 v9, v6
	v_and_or_b32 v11, v12, s11, v11
	v_lshl_or_b32 v10, v11, 16, v10
	v_cvt_f64_f32_e32 v[6:7], v7
	v_mov_b32_e32 v11, s5
	v_add_co_u32_e32 v20, vcc, s4, v4
	v_mul_f64 v[6:7], v[6:7], s[2:3]
	v_addc_co_u32_e32 v21, vcc, v11, v5, vcc
	v_lshlrev_b64 v[4:5], 2, v[8:9]
	v_mul_f16_sdwa v2, v73, v2 dst_sel:DWORD dst_unused:UNUSED_PAD src0_sel:WORD_1 src1_sel:DWORD
	v_add_co_u32_e32 v8, vcc, v20, v4
	v_addc_co_u32_e32 v9, vcc, v21, v5, vcc
	v_and_or_b32 v4, v7, s6, v6
	v_cmp_ne_u32_e32 vcc, 0, v4
	v_cndmask_b32_e64 v4, 0, 1, vcc
	v_lshrrev_b32_e32 v5, 8, v7
	global_store_dword v[8:9], v10, off
	v_and_or_b32 v10, v5, s7, v4
	v_bfe_u32 v5, v7, 20, 11
	v_sub_u32_e32 v6, 0x3f1, v5
	v_or_b32_e32 v4, 0x1000, v10
	v_med3_i32 v6, v6, 0, 13
	v_lshrrev_b32_e32 v11, v6, v4
	v_lshlrev_b32_e32 v6, v6, v11
	v_cmp_ne_u32_e32 vcc, v6, v4
	v_cndmask_b32_e64 v4, 0, 1, vcc
	v_fma_f16 v2, v73, v13, -v2
	v_or_b32_e32 v4, v11, v4
	v_add_u32_e32 v11, 0xfffffc10, v5
	v_cvt_f32_f16_e32 v2, v2
	v_lshl_or_b32 v5, v11, 12, v10
	v_cmp_gt_i32_e32 vcc, 1, v11
	v_cndmask_b32_e32 v4, v5, v4, vcc
	v_and_b32_e32 v5, 7, v4
	v_cmp_lt_i32_e32 vcc, 5, v5
	v_cmp_eq_u32_e64 s[0:1], 3, v5
	v_lshrrev_b32_e32 v6, 2, v4
	v_cvt_f64_f32_e32 v[4:5], v2
	s_or_b64 vcc, s[0:1], vcc
	v_addc_co_u32_e32 v2, vcc, 0, v6, vcc
	v_mul_f64 v[5:6], v[4:5], s[2:3]
	v_cmp_gt_i32_e32 vcc, 31, v11
	v_cndmask_b32_e32 v2, v0, v2, vcc
	v_cmp_ne_u32_e32 vcc, 0, v10
	v_cndmask_b32_e64 v4, 0, 1, vcc
	v_lshl_or_b32 v4, v4, 9, v0
	v_cmp_eq_u32_e32 vcc, s10, v11
	v_cndmask_b32_e32 v2, v2, v4, vcc
	v_lshrrev_b32_e32 v4, 16, v7
	v_and_or_b32 v2, v4, s11, v2
	v_and_or_b32 v4, v6, s6, v5
	v_cmp_ne_u32_e32 vcc, 0, v4
	v_cndmask_b32_e64 v4, 0, 1, vcc
	v_lshrrev_b32_e32 v5, 8, v6
	v_bfe_u32 v7, v6, 20, 11
	v_and_or_b32 v4, v5, s7, v4
	v_sub_u32_e32 v10, 0x3f1, v7
	v_or_b32_e32 v5, 0x1000, v4
	v_med3_i32 v10, v10, 0, 13
	v_lshrrev_b32_e32 v11, v10, v5
	v_lshlrev_b32_e32 v10, v10, v11
	v_cmp_ne_u32_e32 vcc, v10, v5
	v_cndmask_b32_e64 v5, 0, 1, vcc
	v_add_u32_e32 v7, 0xfffffc10, v7
	v_or_b32_e32 v5, v11, v5
	v_lshl_or_b32 v10, v7, 12, v4
	v_cmp_gt_i32_e32 vcc, 1, v7
	v_cndmask_b32_e32 v5, v10, v5, vcc
	v_and_b32_e32 v10, 7, v5
	v_cmp_lt_i32_e32 vcc, 5, v10
	v_cmp_eq_u32_e64 s[0:1], 3, v10
	v_lshrrev_b32_e32 v5, 2, v5
	s_or_b64 vcc, s[0:1], vcc
	v_addc_co_u32_e32 v5, vcc, 0, v5, vcc
	v_cmp_gt_i32_e32 vcc, 31, v7
	v_cndmask_b32_e32 v10, v0, v5, vcc
	v_cmp_ne_u32_e32 vcc, 0, v4
	ds_read2_b32 v[4:5], v79 offset1:160
	v_cndmask_b32_e64 v11, 0, 1, vcc
	v_lshl_or_b32 v11, v11, 9, v0
	v_cmp_eq_u32_e32 vcc, s10, v7
	v_cndmask_b32_e32 v7, v10, v11, vcc
	s_waitcnt lgkmcnt(0)
	v_lshrrev_b32_e32 v10, 16, v4
	v_mul_f16_sdwa v11, v71, v10 dst_sel:DWORD dst_unused:UNUSED_PAD src0_sel:WORD_1 src1_sel:DWORD
	v_fma_f16 v11, v71, v4, v11
	v_cvt_f32_f16_e32 v11, v11
	v_lshrrev_b32_e32 v6, 16, v6
	v_and_or_b32 v6, v6, s11, v7
	v_and_b32_e32 v2, 0xffff, v2
	v_lshl_or_b32 v2, v6, 16, v2
	v_cvt_f64_f32_e32 v[6:7], v11
	s_mul_i32 s0, s9, 0x500
	s_mul_hi_u32 s4, s8, 0x500
	s_add_i32 s4, s4, s0
	v_mul_f64 v[6:7], v[6:7], s[2:3]
	s_mul_i32 s5, s8, 0x500
	v_mov_b32_e32 v11, s4
	v_add_co_u32_e32 v8, vcc, s5, v8
	v_addc_co_u32_e32 v9, vcc, v9, v11, vcc
	global_store_dword v[8:9], v2, off
	v_and_or_b32 v2, v7, s6, v6
	v_cmp_ne_u32_e32 vcc, 0, v2
	v_cndmask_b32_e64 v2, 0, 1, vcc
	v_lshrrev_b32_e32 v6, 8, v7
	v_bfe_u32 v11, v7, 20, 11
	v_and_or_b32 v2, v6, s7, v2
	v_sub_u32_e32 v12, 0x3f1, v11
	v_or_b32_e32 v6, 0x1000, v2
	v_med3_i32 v12, v12, 0, 13
	v_lshrrev_b32_e32 v13, v12, v6
	v_lshlrev_b32_e32 v12, v12, v13
	v_mul_f16_sdwa v4, v71, v4 dst_sel:DWORD dst_unused:UNUSED_PAD src0_sel:WORD_1 src1_sel:DWORD
	v_cmp_ne_u32_e32 vcc, v12, v6
	v_fma_f16 v4, v71, v10, -v4
	v_cndmask_b32_e64 v6, 0, 1, vcc
	v_add_u32_e32 v12, 0xfffffc10, v11
	v_cvt_f32_f16_e32 v4, v4
	v_or_b32_e32 v6, v13, v6
	v_lshl_or_b32 v11, v12, 12, v2
	v_cmp_gt_i32_e32 vcc, 1, v12
	v_cndmask_b32_e32 v6, v11, v6, vcc
	v_and_b32_e32 v11, 7, v6
	v_cmp_lt_i32_e32 vcc, 5, v11
	v_cmp_eq_u32_e64 s[0:1], 3, v11
	v_cvt_f64_f32_e32 v[10:11], v4
	v_lshrrev_b32_e32 v6, 2, v6
	s_or_b64 vcc, s[0:1], vcc
	v_addc_co_u32_e32 v4, vcc, 0, v6, vcc
	v_mul_f64 v[10:11], v[10:11], s[2:3]
	v_cmp_gt_i32_e32 vcc, 31, v12
	v_cndmask_b32_e32 v4, v0, v4, vcc
	v_cmp_ne_u32_e32 vcc, 0, v2
	v_cndmask_b32_e64 v2, 0, 1, vcc
	v_lshl_or_b32 v2, v2, 9, v0
	v_cmp_eq_u32_e32 vcc, s10, v12
	v_cndmask_b32_e32 v2, v4, v2, vcc
	v_lshrrev_b32_e32 v4, 16, v7
	v_and_or_b32 v2, v4, s11, v2
	v_and_or_b32 v4, v11, s6, v10
	v_cmp_ne_u32_e32 vcc, 0, v4
	v_cndmask_b32_e64 v4, 0, 1, vcc
	v_lshrrev_b32_e32 v6, 8, v11
	v_bfe_u32 v7, v11, 20, 11
	v_and_or_b32 v4, v6, s7, v4
	v_sub_u32_e32 v10, 0x3f1, v7
	v_or_b32_e32 v6, 0x1000, v4
	v_med3_i32 v10, v10, 0, 13
	v_lshrrev_b32_e32 v12, v10, v6
	v_lshlrev_b32_e32 v10, v10, v12
	v_cmp_ne_u32_e32 vcc, v10, v6
	v_cndmask_b32_e64 v6, 0, 1, vcc
	v_add_u32_e32 v10, 0xfffffc10, v7
	v_or_b32_e32 v6, v12, v6
	v_lshl_or_b32 v7, v10, 12, v4
	v_cmp_gt_i32_e32 vcc, 1, v10
	v_cndmask_b32_e32 v6, v7, v6, vcc
	v_and_b32_e32 v7, 7, v6
	v_cmp_lt_i32_e32 vcc, 5, v7
	v_cmp_eq_u32_e64 s[0:1], 3, v7
	v_lshrrev_b32_e32 v6, 2, v6
	s_or_b64 vcc, s[0:1], vcc
	v_addc_co_u32_e32 v12, vcc, 0, v6, vcc
	ds_read2_b32 v[6:7], v80 offset0:64 offset1:224
	v_cmp_gt_i32_e32 vcc, 31, v10
	v_cndmask_b32_e32 v12, v0, v12, vcc
	v_cmp_ne_u32_e32 vcc, 0, v4
	v_cndmask_b32_e64 v4, 0, 1, vcc
	s_waitcnt lgkmcnt(0)
	v_lshrrev_b32_e32 v14, 16, v6
	v_mul_f16_sdwa v13, v69, v14 dst_sel:DWORD dst_unused:UNUSED_PAD src0_sel:WORD_1 src1_sel:DWORD
	v_fma_f16 v13, v69, v6, v13
	v_cvt_f32_f16_e32 v13, v13
	v_lshl_or_b32 v4, v4, 9, v0
	v_cmp_eq_u32_e32 vcc, s10, v10
	v_cndmask_b32_e32 v4, v12, v4, vcc
	v_cvt_f64_f32_e32 v[12:13], v13
	v_lshrrev_b32_e32 v10, 16, v11
	v_and_or_b32 v4, v10, s11, v4
	v_and_b32_e32 v2, 0xffff, v2
	v_mul_f64 v[10:11], v[12:13], s[2:3]
	v_lshl_or_b32 v2, v4, 16, v2
	v_mov_b32_e32 v4, s4
	v_add_co_u32_e32 v12, vcc, s5, v8
	v_addc_co_u32_e32 v13, vcc, v9, v4, vcc
	global_store_dword v[12:13], v2, off
	v_and_or_b32 v2, v11, s6, v10
	v_cmp_ne_u32_e32 vcc, 0, v2
	v_cndmask_b32_e64 v2, 0, 1, vcc
	v_lshrrev_b32_e32 v4, 8, v11
	v_bfe_u32 v8, v11, 20, 11
	v_and_or_b32 v2, v4, s7, v2
	v_sub_u32_e32 v9, 0x3f1, v8
	v_or_b32_e32 v4, 0x1000, v2
	v_med3_i32 v9, v9, 0, 13
	v_lshrrev_b32_e32 v10, v9, v4
	v_lshlrev_b32_e32 v9, v9, v10
	v_mul_f16_sdwa v6, v69, v6 dst_sel:DWORD dst_unused:UNUSED_PAD src0_sel:WORD_1 src1_sel:DWORD
	v_cmp_ne_u32_e32 vcc, v9, v4
	v_fma_f16 v6, v69, v14, -v6
	v_cndmask_b32_e64 v4, 0, 1, vcc
	v_add_u32_e32 v15, 0xfffffc10, v8
	v_cvt_f32_f16_e32 v6, v6
	v_or_b32_e32 v4, v10, v4
	v_lshl_or_b32 v8, v15, 12, v2
	v_cmp_gt_i32_e32 vcc, 1, v15
	v_cndmask_b32_e32 v4, v8, v4, vcc
	v_and_b32_e32 v8, 7, v4
	v_cmp_lt_i32_e32 vcc, 5, v8
	v_cmp_eq_u32_e64 s[0:1], 3, v8
	v_cvt_f64_f32_e32 v[8:9], v6
	v_lshrrev_b32_e32 v4, 2, v4
	s_or_b64 vcc, s[0:1], vcc
	v_addc_co_u32_e32 v4, vcc, 0, v4, vcc
	v_mul_f64 v[9:10], v[8:9], s[2:3]
	v_cmp_gt_i32_e32 vcc, 31, v15
	v_cndmask_b32_e32 v4, v0, v4, vcc
	v_cmp_ne_u32_e32 vcc, 0, v2
	v_cndmask_b32_e64 v2, 0, 1, vcc
	v_lshl_or_b32 v2, v2, 9, v0
	v_cmp_eq_u32_e32 vcc, s10, v15
	v_cndmask_b32_e32 v2, v4, v2, vcc
	v_lshrrev_b32_e32 v4, 16, v11
	v_and_or_b32 v2, v4, s11, v2
	v_and_or_b32 v4, v10, s6, v9
	v_cmp_ne_u32_e32 vcc, 0, v4
	v_cndmask_b32_e64 v4, 0, 1, vcc
	v_lshrrev_b32_e32 v6, 8, v10
	v_bfe_u32 v8, v10, 20, 11
	v_and_or_b32 v4, v6, s7, v4
	v_sub_u32_e32 v9, 0x3f1, v8
	v_or_b32_e32 v6, 0x1000, v4
	v_med3_i32 v9, v9, 0, 13
	v_lshrrev_b32_e32 v11, v9, v6
	v_lshlrev_b32_e32 v9, v9, v11
	v_cmp_ne_u32_e32 vcc, v9, v6
	v_cndmask_b32_e64 v6, 0, 1, vcc
	v_or_b32_e32 v6, v11, v6
	v_add_u32_e32 v11, 0xfffffc10, v8
	v_lshl_or_b32 v8, v11, 12, v4
	v_cmp_gt_i32_e32 vcc, 1, v11
	v_cndmask_b32_e32 v6, v8, v6, vcc
	v_and_b32_e32 v8, 7, v6
	v_cmp_lt_i32_e32 vcc, 5, v8
	v_cmp_eq_u32_e64 s[0:1], 3, v8
	ds_read2_b32 v[8:9], v77 offset1:160
	v_lshrrev_b32_e32 v6, 2, v6
	s_or_b64 vcc, s[0:1], vcc
	v_addc_co_u32_e32 v6, vcc, 0, v6, vcc
	s_waitcnt lgkmcnt(0)
	v_lshrrev_b32_e32 v16, 16, v8
	v_mul_f16_sdwa v14, v67, v16 dst_sel:DWORD dst_unused:UNUSED_PAD src0_sel:WORD_1 src1_sel:DWORD
	v_fma_f16 v14, v67, v8, v14
	v_cvt_f32_f16_e32 v14, v14
	v_cmp_gt_i32_e32 vcc, 31, v11
	v_cndmask_b32_e32 v6, v0, v6, vcc
	v_cmp_ne_u32_e32 vcc, 0, v4
	v_cvt_f64_f32_e32 v[14:15], v14
	v_cndmask_b32_e64 v4, 0, 1, vcc
	v_lshl_or_b32 v4, v4, 9, v0
	v_cmp_eq_u32_e32 vcc, s10, v11
	v_cndmask_b32_e32 v4, v6, v4, vcc
	v_lshrrev_b32_e32 v6, 16, v10
	v_mul_f64 v[10:11], v[14:15], s[2:3]
	v_and_or_b32 v4, v6, s11, v4
	v_and_b32_e32 v2, 0xffff, v2
	v_lshl_or_b32 v2, v4, 16, v2
	v_mov_b32_e32 v4, s4
	v_add_co_u32_e32 v14, vcc, s5, v12
	v_addc_co_u32_e32 v15, vcc, v13, v4, vcc
	global_store_dword v[14:15], v2, off
	v_and_or_b32 v2, v11, s6, v10
	v_cmp_ne_u32_e32 vcc, 0, v2
	v_cndmask_b32_e64 v2, 0, 1, vcc
	v_lshrrev_b32_e32 v4, 8, v11
	v_bfe_u32 v6, v11, 20, 11
	v_and_or_b32 v2, v4, s7, v2
	v_sub_u32_e32 v10, 0x3f1, v6
	v_mul_f16_sdwa v8, v67, v8 dst_sel:DWORD dst_unused:UNUSED_PAD src0_sel:WORD_1 src1_sel:DWORD
	v_or_b32_e32 v4, 0x1000, v2
	v_med3_i32 v10, v10, 0, 13
	v_fma_f16 v8, v67, v16, -v8
	v_lshrrev_b32_e32 v12, v10, v4
	v_cvt_f32_f16_e32 v8, v8
	v_lshlrev_b32_e32 v10, v10, v12
	v_cmp_ne_u32_e32 vcc, v10, v4
	v_cndmask_b32_e64 v4, 0, 1, vcc
	v_or_b32_e32 v4, v12, v4
	v_add_u32_e32 v6, 0xfffffc10, v6
	v_cvt_f64_f32_e32 v[12:13], v8
	v_lshl_or_b32 v10, v6, 12, v2
	v_cmp_gt_i32_e32 vcc, 1, v6
	v_cndmask_b32_e32 v4, v10, v4, vcc
	v_and_b32_e32 v10, 7, v4
	v_cmp_lt_i32_e32 vcc, 5, v10
	v_cmp_eq_u32_e64 s[0:1], 3, v10
	v_mul_f64 v[12:13], v[12:13], s[2:3]
	v_lshrrev_b32_e32 v4, 2, v4
	s_or_b64 vcc, s[0:1], vcc
	v_addc_co_u32_e32 v4, vcc, 0, v4, vcc
	v_cmp_gt_i32_e32 vcc, 31, v6
	v_cndmask_b32_e32 v4, v0, v4, vcc
	v_cmp_ne_u32_e32 vcc, 0, v2
	v_cndmask_b32_e64 v2, 0, 1, vcc
	v_lshl_or_b32 v2, v2, 9, v0
	v_cmp_eq_u32_e32 vcc, s10, v6
	v_cndmask_b32_e32 v2, v4, v2, vcc
	v_lshrrev_b32_e32 v4, 16, v11
	v_and_or_b32 v4, v4, s11, v2
	v_and_or_b32 v2, v13, s6, v12
	v_cmp_ne_u32_e32 vcc, 0, v2
	v_cndmask_b32_e64 v2, 0, 1, vcc
	v_lshrrev_b32_e32 v6, 8, v13
	v_bfe_u32 v8, v13, 20, 11
	v_and_or_b32 v2, v6, s7, v2
	v_sub_u32_e32 v10, 0x3f1, v8
	v_or_b32_e32 v6, 0x1000, v2
	v_med3_i32 v10, v10, 0, 13
	v_lshrrev_b32_e32 v11, v10, v6
	v_lshlrev_b32_e32 v10, v10, v11
	v_cmp_ne_u32_e32 vcc, v10, v6
	v_cndmask_b32_e64 v6, 0, 1, vcc
	v_add_u32_e32 v8, 0xfffffc10, v8
	v_or_b32_e32 v6, v11, v6
	v_lshl_or_b32 v10, v8, 12, v2
	v_cmp_gt_i32_e32 vcc, 1, v8
	v_cndmask_b32_e32 v6, v10, v6, vcc
	v_and_b32_e32 v10, 7, v6
	v_cmp_lt_i32_e32 vcc, 5, v10
	v_cmp_eq_u32_e64 s[0:1], 3, v10
	ds_read2_b32 v[10:11], v78 offset0:64 offset1:224
	v_lshrrev_b32_e32 v6, 2, v6
	s_or_b64 vcc, s[0:1], vcc
	v_addc_co_u32_e32 v6, vcc, 0, v6, vcc
	v_cmp_gt_i32_e32 vcc, 31, v8
	v_cndmask_b32_e32 v6, v0, v6, vcc
	v_cmp_ne_u32_e32 vcc, 0, v2
	v_cndmask_b32_e64 v2, 0, 1, vcc
	v_cmp_eq_u32_e32 vcc, s10, v8
	s_waitcnt lgkmcnt(0)
	v_lshrrev_b32_e32 v8, 16, v10
	v_mul_f16_sdwa v12, v64, v8 dst_sel:DWORD dst_unused:UNUSED_PAD src0_sel:WORD_1 src1_sel:DWORD
	v_mad_u64_u32 v[16:17], s[0:1], s8, v65, 0
	v_fma_f16 v12, v64, v10, v12
	v_cvt_f32_f16_e32 v12, v12
	v_lshl_or_b32 v2, v2, 9, v0
	v_cndmask_b32_e32 v6, v6, v2, vcc
	v_mov_b32_e32 v2, v17
	v_mad_u64_u32 v[17:18], s[0:1], s9, v65, v[2:3]
	v_lshrrev_b32_e32 v2, 16, v13
	v_cvt_f64_f32_e32 v[12:13], v12
	v_lshlrev_b64 v[16:17], 2, v[16:17]
	v_and_or_b32 v2, v2, s11, v6
	v_and_b32_e32 v4, 0xffff, v4
	v_mul_f64 v[12:13], v[12:13], s[2:3]
	v_add_co_u32_e32 v16, vcc, v20, v16
	v_lshl_or_b32 v2, v2, 16, v4
	v_addc_co_u32_e32 v17, vcc, v21, v17, vcc
	global_store_dword v[16:17], v2, off
	v_mul_f16_sdwa v10, v64, v10 dst_sel:DWORD dst_unused:UNUSED_PAD src0_sel:WORD_1 src1_sel:DWORD
	v_and_or_b32 v2, v13, s6, v12
	v_cmp_ne_u32_e32 vcc, 0, v2
	v_cndmask_b32_e64 v2, 0, 1, vcc
	v_lshrrev_b32_e32 v4, 8, v13
	v_bfe_u32 v6, v13, 20, 11
	v_and_or_b32 v2, v4, s7, v2
	v_sub_u32_e32 v12, 0x3f1, v6
	v_or_b32_e32 v4, 0x1000, v2
	v_med3_i32 v12, v12, 0, 13
	v_fma_f16 v8, v64, v8, -v10
	v_lshrrev_b32_e32 v16, v12, v4
	v_cvt_f32_f16_e32 v8, v8
	v_lshlrev_b32_e32 v12, v12, v16
	v_cmp_ne_u32_e32 vcc, v12, v4
	v_cndmask_b32_e64 v4, 0, 1, vcc
	v_or_b32_e32 v4, v16, v4
	v_add_u32_e32 v6, 0xfffffc10, v6
	v_cvt_f64_f32_e32 v[16:17], v8
	v_lshl_or_b32 v12, v6, 12, v2
	v_cmp_gt_i32_e32 vcc, 1, v6
	v_cndmask_b32_e32 v4, v12, v4, vcc
	v_and_b32_e32 v12, 7, v4
	v_cmp_lt_i32_e32 vcc, 5, v12
	v_cmp_eq_u32_e64 s[0:1], 3, v12
	v_mul_f64 v[16:17], v[16:17], s[2:3]
	v_lshrrev_b32_e32 v4, 2, v4
	s_or_b64 vcc, s[0:1], vcc
	v_addc_co_u32_e32 v4, vcc, 0, v4, vcc
	v_cmp_gt_i32_e32 vcc, 31, v6
	v_cndmask_b32_e32 v4, v0, v4, vcc
	v_cmp_ne_u32_e32 vcc, 0, v2
	v_cndmask_b32_e64 v2, 0, 1, vcc
	v_lshl_or_b32 v2, v2, 9, v0
	v_cmp_eq_u32_e32 vcc, s10, v6
	v_cndmask_b32_e32 v2, v4, v2, vcc
	v_lshrrev_b32_e32 v4, 16, v13
	v_and_or_b32 v2, v4, s11, v2
	v_and_or_b32 v4, v17, s6, v16
	v_cmp_ne_u32_e32 vcc, 0, v4
	v_cndmask_b32_e64 v4, 0, 1, vcc
	v_lshrrev_b32_e32 v6, 8, v17
	v_bfe_u32 v8, v17, 20, 11
	v_and_or_b32 v4, v6, s7, v4
	v_sub_u32_e32 v10, 0x3f1, v8
	v_or_b32_e32 v6, 0x1000, v4
	v_med3_i32 v10, v10, 0, 13
	v_lshrrev_b32_e32 v12, v10, v6
	v_lshlrev_b32_e32 v10, v10, v12
	v_cmp_ne_u32_e32 vcc, v10, v6
	v_cndmask_b32_e64 v6, 0, 1, vcc
	v_or_b32_e32 v6, v12, v6
	ds_read2_b32 v[12:13], v72 offset1:160
	v_add_u32_e32 v8, 0xfffffc10, v8
	v_lshl_or_b32 v10, v8, 12, v4
	v_cmp_gt_i32_e32 vcc, 1, v8
	v_cndmask_b32_e32 v6, v10, v6, vcc
	v_and_b32_e32 v10, 7, v6
	v_cmp_lt_i32_e32 vcc, 5, v10
	v_cmp_eq_u32_e64 s[0:1], 3, v10
	s_waitcnt lgkmcnt(0)
	v_lshrrev_b32_e32 v10, 16, v12
	v_mul_f16_sdwa v16, v62, v10 dst_sel:DWORD dst_unused:UNUSED_PAD src0_sel:WORD_1 src1_sel:DWORD
	v_fma_f16 v16, v62, v12, v16
	v_cvt_f32_f16_e32 v16, v16
	v_lshrrev_b32_e32 v6, 2, v6
	s_or_b64 vcc, s[0:1], vcc
	v_addc_co_u32_e32 v6, vcc, 0, v6, vcc
	v_cmp_gt_i32_e32 vcc, 31, v8
	v_cvt_f64_f32_e32 v[18:19], v16
	v_cndmask_b32_e32 v6, v0, v6, vcc
	v_cmp_ne_u32_e32 vcc, 0, v4
	v_cndmask_b32_e64 v4, 0, 1, vcc
	v_lshl_or_b32 v4, v4, 9, v0
	v_cmp_eq_u32_e32 vcc, s10, v8
	v_cndmask_b32_e32 v4, v6, v4, vcc
	v_lshrrev_b32_e32 v6, 16, v17
	v_mul_f64 v[16:17], v[18:19], s[2:3]
	v_mad_u64_u32 v[18:19], s[0:1], s8, v56, v[14:15]
	v_and_or_b32 v4, v6, s11, v4
	v_and_b32_e32 v2, 0xffff, v2
	v_lshl_or_b32 v2, v4, 16, v2
	v_add_u32_e32 v19, s12, v19
	global_store_dword v[18:19], v2, off
	v_and_or_b32 v2, v17, s6, v16
	v_cmp_ne_u32_e32 vcc, 0, v2
	v_cndmask_b32_e64 v2, 0, 1, vcc
	v_lshrrev_b32_e32 v4, 8, v17
	v_bfe_u32 v6, v17, 20, 11
	v_and_or_b32 v2, v4, s7, v2
	v_sub_u32_e32 v8, 0x3f1, v6
	v_mul_f16_sdwa v12, v62, v12 dst_sel:DWORD dst_unused:UNUSED_PAD src0_sel:WORD_1 src1_sel:DWORD
	v_or_b32_e32 v4, 0x1000, v2
	v_med3_i32 v8, v8, 0, 13
	v_fma_f16 v10, v62, v10, -v12
	v_lshrrev_b32_e32 v14, v8, v4
	v_cvt_f32_f16_e32 v10, v10
	v_lshlrev_b32_e32 v8, v8, v14
	v_cmp_ne_u32_e32 vcc, v8, v4
	v_cndmask_b32_e64 v4, 0, 1, vcc
	v_or_b32_e32 v4, v14, v4
	v_add_u32_e32 v6, 0xfffffc10, v6
	v_cvt_f64_f32_e32 v[14:15], v10
	v_lshl_or_b32 v8, v6, 12, v2
	v_cmp_gt_i32_e32 vcc, 1, v6
	v_cndmask_b32_e32 v4, v8, v4, vcc
	v_and_b32_e32 v8, 7, v4
	v_cmp_lt_i32_e32 vcc, 5, v8
	v_cmp_eq_u32_e64 s[0:1], 3, v8
	v_mul_f64 v[15:16], v[14:15], s[2:3]
	v_lshrrev_b32_e32 v4, 2, v4
	s_or_b64 vcc, s[0:1], vcc
	v_addc_co_u32_e32 v4, vcc, 0, v4, vcc
	v_cmp_gt_i32_e32 vcc, 31, v6
	v_cndmask_b32_e32 v4, v0, v4, vcc
	v_cmp_ne_u32_e32 vcc, 0, v2
	v_cndmask_b32_e64 v2, 0, 1, vcc
	v_lshl_or_b32 v2, v2, 9, v0
	v_cmp_eq_u32_e32 vcc, s10, v6
	v_cndmask_b32_e32 v2, v4, v2, vcc
	v_lshrrev_b32_e32 v4, 16, v17
	v_and_or_b32 v2, v4, s11, v2
	v_and_or_b32 v4, v16, s6, v15
	v_cmp_ne_u32_e32 vcc, 0, v4
	v_cndmask_b32_e64 v4, 0, 1, vcc
	v_lshrrev_b32_e32 v6, 8, v16
	v_bfe_u32 v8, v16, 20, 11
	v_and_or_b32 v4, v6, s7, v4
	v_sub_u32_e32 v10, 0x3f1, v8
	v_or_b32_e32 v6, 0x1000, v4
	v_med3_i32 v10, v10, 0, 13
	v_lshrrev_b32_e32 v12, v10, v6
	v_lshlrev_b32_e32 v10, v10, v12
	v_cmp_ne_u32_e32 vcc, v10, v6
	ds_read2_b32 v[14:15], v70 offset0:64 offset1:224
	v_cndmask_b32_e64 v6, 0, 1, vcc
	v_add_u32_e32 v8, 0xfffffc10, v8
	v_or_b32_e32 v6, v12, v6
	v_lshl_or_b32 v10, v8, 12, v4
	v_cmp_gt_i32_e32 vcc, 1, v8
	v_cndmask_b32_e32 v6, v10, v6, vcc
	v_and_b32_e32 v10, 7, v6
	v_cmp_lt_i32_e32 vcc, 5, v10
	v_cmp_eq_u32_e64 s[0:1], 3, v10
	s_waitcnt lgkmcnt(0)
	v_lshrrev_b32_e32 v10, 16, v14
	v_mul_f16_sdwa v12, v63, v10 dst_sel:DWORD dst_unused:UNUSED_PAD src0_sel:WORD_1 src1_sel:DWORD
	v_fma_f16 v12, v63, v14, v12
	v_cvt_f32_f16_e32 v12, v12
	v_lshrrev_b32_e32 v6, 2, v6
	s_or_b64 vcc, s[0:1], vcc
	v_addc_co_u32_e32 v6, vcc, 0, v6, vcc
	v_cmp_gt_i32_e32 vcc, 31, v8
	v_cvt_f64_f32_e32 v[22:23], v12
	v_cndmask_b32_e32 v6, v0, v6, vcc
	v_cmp_ne_u32_e32 vcc, 0, v4
	v_cndmask_b32_e64 v4, 0, 1, vcc
	v_lshl_or_b32 v4, v4, 9, v0
	v_cmp_eq_u32_e32 vcc, s10, v8
	v_cndmask_b32_e32 v4, v6, v4, vcc
	v_lshrrev_b32_e32 v6, 16, v16
	v_mul_f64 v[16:17], v[22:23], s[2:3]
	v_and_or_b32 v4, v6, s11, v4
	v_and_b32_e32 v2, 0xffff, v2
	v_lshl_or_b32 v2, v4, 16, v2
	v_mov_b32_e32 v4, s4
	v_add_co_u32_e32 v18, vcc, s5, v18
	v_addc_co_u32_e32 v19, vcc, v19, v4, vcc
	global_store_dword v[18:19], v2, off
	v_and_or_b32 v2, v17, s6, v16
	v_cmp_ne_u32_e32 vcc, 0, v2
	v_cndmask_b32_e64 v2, 0, 1, vcc
	v_lshrrev_b32_e32 v4, 8, v17
	v_bfe_u32 v6, v17, 20, 11
	v_and_or_b32 v2, v4, s7, v2
	v_sub_u32_e32 v8, 0x3f1, v6
	v_or_b32_e32 v4, 0x1000, v2
	v_med3_i32 v8, v8, 0, 13
	v_lshrrev_b32_e32 v12, v8, v4
	v_lshlrev_b32_e32 v8, v8, v12
	v_cmp_ne_u32_e32 vcc, v8, v4
	v_cndmask_b32_e64 v4, 0, 1, vcc
	v_or_b32_e32 v4, v12, v4
	v_mul_f16_sdwa v12, v63, v14 dst_sel:DWORD dst_unused:UNUSED_PAD src0_sel:WORD_1 src1_sel:DWORD
	v_fma_f16 v10, v63, v10, -v12
	v_cvt_f32_f16_e32 v10, v10
	v_add_u32_e32 v6, 0xfffffc10, v6
	v_lshl_or_b32 v8, v6, 12, v2
	v_cmp_gt_i32_e32 vcc, 1, v6
	v_cvt_f64_f32_e32 v[22:23], v10
	v_cndmask_b32_e32 v4, v8, v4, vcc
	v_and_b32_e32 v8, 7, v4
	v_cmp_lt_i32_e32 vcc, 5, v8
	v_cmp_eq_u32_e64 s[0:1], 3, v8
	v_mul_f64 v[22:23], v[22:23], s[2:3]
	v_lshrrev_b32_e32 v4, 2, v4
	s_or_b64 vcc, s[0:1], vcc
	v_addc_co_u32_e32 v4, vcc, 0, v4, vcc
	v_cmp_gt_i32_e32 vcc, 31, v6
	v_cndmask_b32_e32 v4, v0, v4, vcc
	v_cmp_ne_u32_e32 vcc, 0, v2
	v_cndmask_b32_e64 v2, 0, 1, vcc
	v_lshl_or_b32 v2, v2, 9, v0
	v_cmp_eq_u32_e32 vcc, s10, v6
	v_cndmask_b32_e32 v2, v4, v2, vcc
	v_lshrrev_b32_e32 v4, 16, v17
	v_and_or_b32 v2, v4, s11, v2
	v_and_or_b32 v4, v23, s6, v22
	v_cmp_ne_u32_e32 vcc, 0, v4
	v_cndmask_b32_e64 v4, 0, 1, vcc
	v_lshrrev_b32_e32 v6, 8, v23
	v_bfe_u32 v8, v23, 20, 11
	v_and_or_b32 v4, v6, s7, v4
	v_sub_u32_e32 v10, 0x3f1, v8
	v_or_b32_e32 v6, 0x1000, v4
	v_med3_i32 v10, v10, 0, 13
	v_lshrrev_b32_e32 v12, v10, v6
	v_lshlrev_b32_e32 v10, v10, v12
	v_cmp_ne_u32_e32 vcc, v10, v6
	ds_read2_b32 v[16:17], v68 offset1:160
	v_cndmask_b32_e64 v6, 0, 1, vcc
	v_add_u32_e32 v8, 0xfffffc10, v8
	v_or_b32_e32 v6, v12, v6
	v_lshl_or_b32 v10, v8, 12, v4
	v_cmp_gt_i32_e32 vcc, 1, v8
	v_cndmask_b32_e32 v6, v10, v6, vcc
	v_and_b32_e32 v10, 7, v6
	v_cmp_lt_i32_e32 vcc, 5, v10
	v_cmp_eq_u32_e64 s[0:1], 3, v10
	s_waitcnt lgkmcnt(0)
	v_lshrrev_b32_e32 v10, 16, v16
	v_mul_f16_sdwa v12, v61, v10 dst_sel:DWORD dst_unused:UNUSED_PAD src0_sel:WORD_1 src1_sel:DWORD
	v_fma_f16 v12, v61, v16, v12
	v_cvt_f32_f16_e32 v12, v12
	v_lshrrev_b32_e32 v6, 2, v6
	s_or_b64 vcc, s[0:1], vcc
	v_addc_co_u32_e32 v6, vcc, 0, v6, vcc
	v_cmp_gt_i32_e32 vcc, 31, v8
	v_cvt_f64_f32_e32 v[24:25], v12
	v_cndmask_b32_e32 v6, v0, v6, vcc
	v_cmp_ne_u32_e32 vcc, 0, v4
	v_cndmask_b32_e64 v4, 0, 1, vcc
	v_lshl_or_b32 v4, v4, 9, v0
	v_cmp_eq_u32_e32 vcc, s10, v8
	v_cndmask_b32_e32 v4, v6, v4, vcc
	v_lshrrev_b32_e32 v6, 16, v23
	v_mul_f64 v[22:23], v[24:25], s[2:3]
	v_and_or_b32 v4, v6, s11, v4
	v_and_b32_e32 v2, 0xffff, v2
	v_lshl_or_b32 v2, v4, 16, v2
	v_mov_b32_e32 v4, s4
	v_add_co_u32_e32 v24, vcc, s5, v18
	v_addc_co_u32_e32 v25, vcc, v19, v4, vcc
	global_store_dword v[24:25], v2, off
	v_and_or_b32 v2, v23, s6, v22
	v_cmp_ne_u32_e32 vcc, 0, v2
	v_cndmask_b32_e64 v2, 0, 1, vcc
	v_lshrrev_b32_e32 v4, 8, v23
	v_bfe_u32 v6, v23, 20, 11
	v_and_or_b32 v2, v4, s7, v2
	v_sub_u32_e32 v8, 0x3f1, v6
	v_or_b32_e32 v4, 0x1000, v2
	v_med3_i32 v8, v8, 0, 13
	v_lshrrev_b32_e32 v12, v8, v4
	v_lshlrev_b32_e32 v8, v8, v12
	v_cmp_ne_u32_e32 vcc, v8, v4
	v_cndmask_b32_e64 v4, 0, 1, vcc
	v_or_b32_e32 v4, v12, v4
	v_mul_f16_sdwa v12, v61, v16 dst_sel:DWORD dst_unused:UNUSED_PAD src0_sel:WORD_1 src1_sel:DWORD
	v_fma_f16 v10, v61, v10, -v12
	v_cvt_f32_f16_e32 v10, v10
	v_add_u32_e32 v6, 0xfffffc10, v6
	v_lshl_or_b32 v8, v6, 12, v2
	v_cmp_gt_i32_e32 vcc, 1, v6
	v_cvt_f64_f32_e32 v[18:19], v10
	v_cndmask_b32_e32 v4, v8, v4, vcc
	v_and_b32_e32 v8, 7, v4
	v_cmp_lt_i32_e32 vcc, 5, v8
	v_cmp_eq_u32_e64 s[0:1], 3, v8
	v_mul_f64 v[26:27], v[18:19], s[2:3]
	v_lshrrev_b32_e32 v4, 2, v4
	s_or_b64 vcc, s[0:1], vcc
	v_addc_co_u32_e32 v4, vcc, 0, v4, vcc
	v_cmp_gt_i32_e32 vcc, 31, v6
	v_cndmask_b32_e32 v4, v0, v4, vcc
	v_cmp_ne_u32_e32 vcc, 0, v2
	v_cndmask_b32_e64 v2, 0, 1, vcc
	v_lshl_or_b32 v2, v2, 9, v0
	v_cmp_eq_u32_e32 vcc, s10, v6
	v_cndmask_b32_e32 v2, v4, v2, vcc
	v_lshrrev_b32_e32 v4, 16, v23
	v_and_or_b32 v4, v4, s11, v2
	v_and_or_b32 v2, v27, s6, v26
	v_cmp_ne_u32_e32 vcc, 0, v2
	v_cndmask_b32_e64 v2, 0, 1, vcc
	v_lshrrev_b32_e32 v6, 8, v27
	v_bfe_u32 v8, v27, 20, 11
	v_and_or_b32 v2, v6, s7, v2
	v_sub_u32_e32 v10, 0x3f1, v8
	v_or_b32_e32 v6, 0x1000, v2
	v_med3_i32 v10, v10, 0, 13
	v_lshrrev_b32_e32 v12, v10, v6
	v_lshlrev_b32_e32 v10, v10, v12
	v_cmp_ne_u32_e32 vcc, v10, v6
	v_cndmask_b32_e64 v6, 0, 1, vcc
	v_add_u32_e32 v8, 0xfffffc10, v8
	v_or_b32_e32 v6, v12, v6
	v_lshl_or_b32 v10, v8, 12, v2
	v_cmp_gt_i32_e32 vcc, 1, v8
	v_cndmask_b32_e32 v6, v10, v6, vcc
	v_and_b32_e32 v10, 7, v6
	v_cmp_lt_i32_e32 vcc, 5, v10
	v_cmp_eq_u32_e64 s[0:1], 3, v10
	ds_read2_b32 v[18:19], v66 offset0:64 offset1:224
	v_lshrrev_b32_e32 v6, 2, v6
	s_or_b64 vcc, s[0:1], vcc
	v_addc_co_u32_e32 v6, vcc, 0, v6, vcc
	v_cmp_gt_i32_e32 vcc, 31, v8
	v_cndmask_b32_e32 v6, v0, v6, vcc
	v_cmp_ne_u32_e32 vcc, 0, v2
	v_cndmask_b32_e64 v2, 0, 1, vcc
	v_cmp_eq_u32_e32 vcc, s10, v8
	s_waitcnt lgkmcnt(0)
	v_lshrrev_b32_e32 v8, 16, v18
	v_mul_f16_sdwa v10, v59, v8 dst_sel:DWORD dst_unused:UNUSED_PAD src0_sel:WORD_1 src1_sel:DWORD
	v_mad_u64_u32 v[22:23], s[0:1], s8, v60, 0
	v_fma_f16 v10, v59, v18, v10
	v_cvt_f32_f16_e32 v10, v10
	v_lshl_or_b32 v2, v2, 9, v0
	v_cndmask_b32_e32 v6, v6, v2, vcc
	v_mov_b32_e32 v2, v23
	v_mad_u64_u32 v[28:29], s[0:1], s9, v60, v[2:3]
	v_lshrrev_b32_e32 v2, 16, v27
	v_cvt_f64_f32_e32 v[26:27], v10
	v_mov_b32_e32 v23, v28
	v_lshlrev_b64 v[22:23], 2, v[22:23]
	v_and_or_b32 v2, v2, s11, v6
	v_mul_f64 v[26:27], v[26:27], s[2:3]
	v_and_b32_e32 v4, 0xffff, v4
	v_add_co_u32_e32 v20, vcc, v20, v22
	v_lshl_or_b32 v2, v2, 16, v4
	v_addc_co_u32_e32 v21, vcc, v21, v23, vcc
	global_store_dword v[20:21], v2, off
	v_and_or_b32 v2, v27, s6, v26
	v_cmp_ne_u32_e32 vcc, 0, v2
	v_cndmask_b32_e64 v2, 0, 1, vcc
	v_lshrrev_b32_e32 v4, 8, v27
	v_bfe_u32 v6, v27, 20, 11
	v_and_or_b32 v2, v4, s7, v2
	v_sub_u32_e32 v10, 0x3f1, v6
	v_or_b32_e32 v4, 0x1000, v2
	v_med3_i32 v10, v10, 0, 13
	v_lshrrev_b32_e32 v12, v10, v4
	v_lshlrev_b32_e32 v10, v10, v12
	v_cmp_ne_u32_e32 vcc, v10, v4
	v_cndmask_b32_e64 v4, 0, 1, vcc
	v_or_b32_e32 v4, v12, v4
	v_mul_f16_sdwa v12, v59, v18 dst_sel:DWORD dst_unused:UNUSED_PAD src0_sel:WORD_1 src1_sel:DWORD
	v_fma_f16 v8, v59, v8, -v12
	v_cvt_f32_f16_e32 v8, v8
	v_add_u32_e32 v6, 0xfffffc10, v6
	v_lshl_or_b32 v10, v6, 12, v2
	v_cmp_gt_i32_e32 vcc, 1, v6
	v_cvt_f64_f32_e32 v[20:21], v8
	v_cndmask_b32_e32 v4, v10, v4, vcc
	v_and_b32_e32 v10, 7, v4
	v_cmp_lt_i32_e32 vcc, 5, v10
	v_cmp_eq_u32_e64 s[0:1], 3, v10
	v_mul_f64 v[20:21], v[20:21], s[2:3]
	v_lshrrev_b32_e32 v4, 2, v4
	s_or_b64 vcc, s[0:1], vcc
	v_addc_co_u32_e32 v4, vcc, 0, v4, vcc
	v_cmp_gt_i32_e32 vcc, 31, v6
	v_cndmask_b32_e32 v4, v0, v4, vcc
	v_cmp_ne_u32_e32 vcc, 0, v2
	v_cndmask_b32_e64 v2, 0, 1, vcc
	v_lshl_or_b32 v2, v2, 9, v0
	v_cmp_eq_u32_e32 vcc, s10, v6
	v_cndmask_b32_e32 v2, v4, v2, vcc
	v_lshrrev_b32_e32 v4, 16, v27
	v_and_or_b32 v2, v4, s11, v2
	v_and_or_b32 v4, v21, s6, v20
	v_cmp_ne_u32_e32 vcc, 0, v4
	v_cndmask_b32_e64 v4, 0, 1, vcc
	v_lshrrev_b32_e32 v6, 8, v21
	v_bfe_u32 v8, v21, 20, 11
	v_and_or_b32 v4, v6, s7, v4
	v_sub_u32_e32 v10, 0x3f1, v8
	v_or_b32_e32 v6, 0x1000, v4
	v_med3_i32 v10, v10, 0, 13
	v_lshrrev_b32_e32 v12, v10, v6
	v_lshlrev_b32_e32 v10, v10, v12
	v_cmp_ne_u32_e32 vcc, v10, v6
	v_cndmask_b32_e64 v6, 0, 1, vcc
	v_add_u32_e32 v8, 0xfffffc10, v8
	v_or_b32_e32 v6, v12, v6
	v_lshl_or_b32 v10, v8, 12, v4
	v_cmp_gt_i32_e32 vcc, 1, v8
	v_cndmask_b32_e32 v6, v10, v6, vcc
	v_and_b32_e32 v10, 7, v6
	v_cmp_lt_i32_e32 vcc, 5, v10
	v_cmp_eq_u32_e64 s[0:1], 3, v10
	v_lshrrev_b32_e32 v10, 16, v1
	v_mul_f16_sdwa v12, v57, v10 dst_sel:DWORD dst_unused:UNUSED_PAD src0_sel:WORD_1 src1_sel:DWORD
	v_fma_f16 v12, v57, v1, v12
	v_cvt_f32_f16_e32 v12, v12
	v_lshrrev_b32_e32 v6, 2, v6
	s_or_b64 vcc, s[0:1], vcc
	v_addc_co_u32_e32 v6, vcc, 0, v6, vcc
	v_cmp_gt_i32_e32 vcc, 31, v8
	v_cvt_f64_f32_e32 v[22:23], v12
	v_cndmask_b32_e32 v6, v0, v6, vcc
	v_cmp_ne_u32_e32 vcc, 0, v4
	v_cndmask_b32_e64 v4, 0, 1, vcc
	v_lshl_or_b32 v4, v4, 9, v0
	v_cmp_eq_u32_e32 vcc, s10, v8
	v_cndmask_b32_e32 v4, v6, v4, vcc
	v_lshrrev_b32_e32 v6, 16, v21
	v_mul_f64 v[20:21], v[22:23], s[2:3]
	v_mad_u64_u32 v[22:23], s[0:1], s8, v56, v[24:25]
	v_and_or_b32 v4, v6, s11, v4
	v_and_b32_e32 v2, 0xffff, v2
	v_lshl_or_b32 v2, v4, 16, v2
	v_add_u32_e32 v23, s12, v23
	global_store_dword v[22:23], v2, off
	v_and_or_b32 v2, v21, s6, v20
	v_cmp_ne_u32_e32 vcc, 0, v2
	v_cndmask_b32_e64 v2, 0, 1, vcc
	v_lshrrev_b32_e32 v4, 8, v21
	v_bfe_u32 v6, v21, 20, 11
	v_and_or_b32 v4, v4, s7, v2
	v_sub_u32_e32 v8, 0x3f1, v6
	v_or_b32_e32 v2, 0x1000, v4
	v_med3_i32 v8, v8, 0, 13
	v_lshrrev_b32_e32 v12, v8, v2
	v_lshlrev_b32_e32 v8, v8, v12
	v_mul_f16_sdwa v1, v57, v1 dst_sel:DWORD dst_unused:UNUSED_PAD src0_sel:WORD_1 src1_sel:DWORD
	v_cmp_ne_u32_e32 vcc, v8, v2
	v_fma_f16 v1, v57, v10, -v1
	v_cndmask_b32_e64 v2, 0, 1, vcc
	v_add_u32_e32 v6, 0xfffffc10, v6
	v_cvt_f32_f16_e32 v1, v1
	v_or_b32_e32 v2, v12, v2
	v_lshl_or_b32 v8, v6, 12, v4
	v_cmp_gt_i32_e32 vcc, 1, v6
	v_cndmask_b32_e32 v2, v8, v2, vcc
	v_and_b32_e32 v8, 7, v2
	v_cmp_lt_i32_e32 vcc, 5, v8
	v_cmp_eq_u32_e64 s[0:1], 3, v8
	v_lshrrev_b32_e32 v8, 2, v2
	v_cvt_f64_f32_e32 v[1:2], v1
	s_or_b64 vcc, s[0:1], vcc
	v_addc_co_u32_e32 v8, vcc, 0, v8, vcc
	v_mul_f64 v[1:2], v[1:2], s[2:3]
	v_cmp_gt_i32_e32 vcc, 31, v6
	v_cndmask_b32_e32 v8, v0, v8, vcc
	v_cmp_ne_u32_e32 vcc, 0, v4
	v_cndmask_b32_e64 v4, 0, 1, vcc
	v_lshl_or_b32 v4, v4, 9, v0
	v_cmp_eq_u32_e32 vcc, s10, v6
	v_cndmask_b32_e32 v4, v8, v4, vcc
	v_and_or_b32 v1, v2, s6, v1
	v_lshrrev_b32_e32 v6, 16, v21
	v_cmp_ne_u32_e32 vcc, 0, v1
	v_and_or_b32 v4, v6, s11, v4
	v_cndmask_b32_e64 v1, 0, 1, vcc
	v_lshrrev_b32_e32 v6, 8, v2
	v_bfe_u32 v8, v2, 20, 11
	v_and_or_b32 v1, v6, s7, v1
	v_sub_u32_e32 v10, 0x3f1, v8
	v_or_b32_e32 v6, 0x1000, v1
	v_med3_i32 v10, v10, 0, 13
	v_lshrrev_b32_e32 v12, v10, v6
	v_lshlrev_b32_e32 v10, v10, v12
	v_cmp_ne_u32_e32 vcc, v10, v6
	v_cndmask_b32_e64 v6, 0, 1, vcc
	v_add_u32_e32 v8, 0xfffffc10, v8
	v_or_b32_e32 v6, v12, v6
	v_lshl_or_b32 v10, v8, 12, v1
	v_cmp_gt_i32_e32 vcc, 1, v8
	v_cndmask_b32_e32 v6, v10, v6, vcc
	v_and_b32_e32 v10, 7, v6
	v_cmp_lt_i32_e32 vcc, 5, v10
	v_cmp_eq_u32_e64 s[0:1], 3, v10
	v_lshrrev_b32_e32 v10, 16, v3
	v_mul_f16_sdwa v12, v55, v10 dst_sel:DWORD dst_unused:UNUSED_PAD src0_sel:WORD_1 src1_sel:DWORD
	v_fma_f16 v12, v55, v3, v12
	v_cvt_f32_f16_e32 v12, v12
	v_lshrrev_b32_e32 v6, 2, v6
	s_or_b64 vcc, s[0:1], vcc
	v_addc_co_u32_e32 v6, vcc, 0, v6, vcc
	v_cmp_gt_i32_e32 vcc, 31, v8
	v_cndmask_b32_e32 v6, v0, v6, vcc
	v_cmp_ne_u32_e32 vcc, 0, v1
	v_cvt_f64_f32_e32 v[20:21], v12
	v_cndmask_b32_e64 v1, 0, 1, vcc
	v_lshl_or_b32 v1, v1, 9, v0
	v_cmp_eq_u32_e32 vcc, s10, v8
	v_cndmask_b32_e32 v1, v6, v1, vcc
	v_lshrrev_b32_e32 v2, 16, v2
	v_and_or_b32 v6, v2, s11, v1
	v_mul_f64 v[1:2], v[20:21], s[2:3]
	v_mad_u64_u32 v[20:21], s[0:1], s8, v58, v[22:23]
	s_mul_i32 s0, s9, 0xffffd580
	v_and_b32_e32 v4, 0xffff, v4
	s_sub_i32 s0, s0, s8
	v_lshl_or_b32 v4, v6, 16, v4
	v_add_u32_e32 v21, s0, v21
	v_and_or_b32 v1, v2, s6, v1
	v_cmp_ne_u32_e32 vcc, 0, v1
	global_store_dword v[20:21], v4, off
	v_cndmask_b32_e64 v1, 0, 1, vcc
	v_lshrrev_b32_e32 v4, 8, v2
	v_bfe_u32 v6, v2, 20, 11
	v_and_or_b32 v1, v4, s7, v1
	v_sub_u32_e32 v8, 0x3f1, v6
	v_or_b32_e32 v4, 0x1000, v1
	v_med3_i32 v8, v8, 0, 13
	v_lshrrev_b32_e32 v12, v8, v4
	v_lshlrev_b32_e32 v8, v8, v12
	v_mul_f16_sdwa v3, v55, v3 dst_sel:DWORD dst_unused:UNUSED_PAD src0_sel:WORD_1 src1_sel:DWORD
	v_cmp_ne_u32_e32 vcc, v8, v4
	v_fma_f16 v3, v55, v10, -v3
	v_cndmask_b32_e64 v4, 0, 1, vcc
	v_add_u32_e32 v6, 0xfffffc10, v6
	v_cvt_f32_f16_e32 v3, v3
	v_or_b32_e32 v4, v12, v4
	v_lshl_or_b32 v8, v6, 12, v1
	v_cmp_gt_i32_e32 vcc, 1, v6
	v_cndmask_b32_e32 v4, v8, v4, vcc
	v_and_b32_e32 v8, 7, v4
	v_cmp_lt_i32_e32 vcc, 5, v8
	v_cmp_eq_u32_e64 s[0:1], 3, v8
	v_lshrrev_b32_e32 v8, 2, v4
	v_cvt_f64_f32_e32 v[3:4], v3
	s_or_b64 vcc, s[0:1], vcc
	v_addc_co_u32_e32 v8, vcc, 0, v8, vcc
	v_mul_f64 v[3:4], v[3:4], s[2:3]
	v_cmp_gt_i32_e32 vcc, 31, v6
	v_cndmask_b32_e32 v8, v0, v8, vcc
	v_cmp_ne_u32_e32 vcc, 0, v1
	v_cndmask_b32_e64 v1, 0, 1, vcc
	v_lshl_or_b32 v1, v1, 9, v0
	v_cmp_eq_u32_e32 vcc, s10, v6
	v_cndmask_b32_e32 v1, v8, v1, vcc
	v_lshrrev_b32_e32 v2, 16, v2
	v_and_or_b32 v6, v2, s11, v1
	v_and_or_b32 v1, v4, s6, v3
	v_cmp_ne_u32_e32 vcc, 0, v1
	v_cndmask_b32_e64 v1, 0, 1, vcc
	v_lshrrev_b32_e32 v2, 8, v4
	v_bfe_u32 v3, v4, 20, 11
	v_and_or_b32 v1, v2, s7, v1
	v_sub_u32_e32 v8, 0x3f1, v3
	v_or_b32_e32 v2, 0x1000, v1
	v_med3_i32 v8, v8, 0, 13
	v_lshrrev_b32_e32 v10, v8, v2
	v_lshlrev_b32_e32 v8, v8, v10
	v_cmp_ne_u32_e32 vcc, v8, v2
	v_cndmask_b32_e64 v2, 0, 1, vcc
	v_add_u32_e32 v3, 0xfffffc10, v3
	v_or_b32_e32 v2, v10, v2
	v_lshl_or_b32 v8, v3, 12, v1
	v_cmp_gt_i32_e32 vcc, 1, v3
	v_cndmask_b32_e32 v2, v8, v2, vcc
	v_and_b32_e32 v8, 7, v2
	v_cmp_lt_i32_e32 vcc, 5, v8
	v_cmp_eq_u32_e64 s[0:1], 3, v8
	v_lshrrev_b32_e32 v8, 16, v5
	v_lshrrev_b32_e32 v2, 2, v2
	s_or_b64 vcc, s[0:1], vcc
	v_mul_f16_sdwa v10, v54, v8 dst_sel:DWORD dst_unused:UNUSED_PAD src0_sel:WORD_1 src1_sel:DWORD
	v_addc_co_u32_e32 v2, vcc, 0, v2, vcc
	v_fma_f16 v10, v54, v5, v10
	v_cmp_gt_i32_e32 vcc, 31, v3
	v_cvt_f32_f16_e32 v10, v10
	v_cndmask_b32_e32 v2, v0, v2, vcc
	v_cmp_ne_u32_e32 vcc, 0, v1
	v_cndmask_b32_e64 v1, 0, 1, vcc
	v_lshl_or_b32 v1, v1, 9, v0
	v_cmp_eq_u32_e32 vcc, s10, v3
	v_cndmask_b32_e32 v3, v2, v1, vcc
	v_cvt_f64_f32_e32 v[1:2], v10
	v_lshrrev_b32_e32 v4, 16, v4
	v_and_or_b32 v3, v4, s11, v3
	v_and_b32_e32 v4, 0xffff, v6
	v_mul_f64 v[1:2], v[1:2], s[2:3]
	v_lshl_or_b32 v6, v3, 16, v4
	v_mov_b32_e32 v4, s4
	v_add_co_u32_e32 v3, vcc, s5, v20
	v_addc_co_u32_e32 v4, vcc, v21, v4, vcc
	global_store_dword v[3:4], v6, off
	v_and_or_b32 v1, v2, s6, v1
	v_cmp_ne_u32_e32 vcc, 0, v1
	v_cndmask_b32_e64 v1, 0, 1, vcc
	v_lshrrev_b32_e32 v6, 8, v2
	v_bfe_u32 v10, v2, 20, 11
	v_and_or_b32 v1, v6, s7, v1
	v_sub_u32_e32 v12, 0x3f1, v10
	v_or_b32_e32 v6, 0x1000, v1
	v_med3_i32 v12, v12, 0, 13
	v_lshrrev_b32_e32 v14, v12, v6
	v_mul_f16_sdwa v5, v54, v5 dst_sel:DWORD dst_unused:UNUSED_PAD src0_sel:WORD_1 src1_sel:DWORD
	v_lshlrev_b32_e32 v12, v12, v14
	v_fma_f16 v5, v54, v8, -v5
	v_cmp_ne_u32_e32 vcc, v12, v6
	v_cvt_f32_f16_e32 v5, v5
	v_cndmask_b32_e64 v6, 0, 1, vcc
	v_add_u32_e32 v10, 0xfffffc10, v10
	v_or_b32_e32 v6, v14, v6
	v_lshl_or_b32 v12, v10, 12, v1
	v_cmp_gt_i32_e32 vcc, 1, v10
	v_cndmask_b32_e32 v6, v12, v6, vcc
	v_and_b32_e32 v12, 7, v6
	v_lshrrev_b32_e32 v8, 2, v6
	v_cvt_f64_f32_e32 v[5:6], v5
	v_cmp_lt_i32_e32 vcc, 5, v12
	v_cmp_eq_u32_e64 s[0:1], 3, v12
	s_or_b64 vcc, s[0:1], vcc
	v_mul_f64 v[5:6], v[5:6], s[2:3]
	v_addc_co_u32_e32 v8, vcc, 0, v8, vcc
	v_cmp_gt_i32_e32 vcc, 31, v10
	v_cndmask_b32_e32 v8, v0, v8, vcc
	v_cmp_ne_u32_e32 vcc, 0, v1
	v_cndmask_b32_e64 v1, 0, 1, vcc
	v_lshl_or_b32 v1, v1, 9, v0
	v_cmp_eq_u32_e32 vcc, s10, v10
	v_cndmask_b32_e32 v1, v8, v1, vcc
	v_lshrrev_b32_e32 v2, 16, v2
	v_and_or_b32 v8, v2, s11, v1
	v_and_or_b32 v1, v6, s6, v5
	v_cmp_ne_u32_e32 vcc, 0, v1
	v_cndmask_b32_e64 v1, 0, 1, vcc
	v_lshrrev_b32_e32 v2, 8, v6
	v_bfe_u32 v5, v6, 20, 11
	v_and_or_b32 v1, v2, s7, v1
	v_sub_u32_e32 v10, 0x3f1, v5
	v_or_b32_e32 v2, 0x1000, v1
	v_med3_i32 v10, v10, 0, 13
	v_lshrrev_b32_e32 v12, v10, v2
	v_lshlrev_b32_e32 v10, v10, v12
	v_cmp_ne_u32_e32 vcc, v10, v2
	v_cndmask_b32_e64 v2, 0, 1, vcc
	v_add_u32_e32 v5, 0xfffffc10, v5
	v_or_b32_e32 v2, v12, v2
	v_lshl_or_b32 v10, v5, 12, v1
	v_cmp_gt_i32_e32 vcc, 1, v5
	v_cndmask_b32_e32 v2, v10, v2, vcc
	v_and_b32_e32 v10, 7, v2
	v_cmp_lt_i32_e32 vcc, 5, v10
	v_cmp_eq_u32_e64 s[0:1], 3, v10
	v_lshrrev_b32_e32 v10, 16, v7
	v_lshrrev_b32_e32 v2, 2, v2
	s_or_b64 vcc, s[0:1], vcc
	v_mul_f16_sdwa v12, v53, v10 dst_sel:DWORD dst_unused:UNUSED_PAD src0_sel:WORD_1 src1_sel:DWORD
	v_addc_co_u32_e32 v2, vcc, 0, v2, vcc
	v_fma_f16 v12, v53, v7, v12
	v_cmp_gt_i32_e32 vcc, 31, v5
	v_cvt_f32_f16_e32 v12, v12
	v_cndmask_b32_e32 v2, v0, v2, vcc
	v_cmp_ne_u32_e32 vcc, 0, v1
	v_cndmask_b32_e64 v1, 0, 1, vcc
	v_lshl_or_b32 v1, v1, 9, v0
	v_cmp_eq_u32_e32 vcc, s10, v5
	v_cndmask_b32_e32 v5, v2, v1, vcc
	v_cvt_f64_f32_e32 v[1:2], v12
	v_lshrrev_b32_e32 v6, 16, v6
	v_and_or_b32 v5, v6, s11, v5
	v_and_b32_e32 v6, 0xffff, v8
	v_mul_f64 v[1:2], v[1:2], s[2:3]
	v_lshl_or_b32 v5, v5, 16, v6
	v_mov_b32_e32 v6, s4
	v_add_co_u32_e32 v3, vcc, s5, v3
	v_addc_co_u32_e32 v4, vcc, v4, v6, vcc
	global_store_dword v[3:4], v5, off
	v_and_or_b32 v1, v2, s6, v1
	v_cmp_ne_u32_e32 vcc, 0, v1
	v_cndmask_b32_e64 v1, 0, 1, vcc
	v_lshrrev_b32_e32 v5, 8, v2
	v_bfe_u32 v6, v2, 20, 11
	v_and_or_b32 v1, v5, s7, v1
	v_sub_u32_e32 v8, 0x3f1, v6
	v_or_b32_e32 v5, 0x1000, v1
	v_med3_i32 v8, v8, 0, 13
	v_lshrrev_b32_e32 v12, v8, v5
	v_lshlrev_b32_e32 v8, v8, v12
	v_mul_f16_sdwa v7, v53, v7 dst_sel:DWORD dst_unused:UNUSED_PAD src0_sel:WORD_1 src1_sel:DWORD
	v_cmp_ne_u32_e32 vcc, v8, v5
	v_fma_f16 v7, v53, v10, -v7
	v_cndmask_b32_e64 v5, 0, 1, vcc
	v_add_u32_e32 v8, 0xfffffc10, v6
	v_cvt_f32_f16_e32 v7, v7
	v_or_b32_e32 v5, v12, v5
	v_lshl_or_b32 v6, v8, 12, v1
	v_cmp_gt_i32_e32 vcc, 1, v8
	v_cndmask_b32_e32 v5, v6, v5, vcc
	v_and_b32_e32 v6, 7, v5
	v_cmp_lt_i32_e32 vcc, 5, v6
	v_cmp_eq_u32_e64 s[0:1], 3, v6
	v_lshrrev_b32_e32 v10, 2, v5
	v_cvt_f64_f32_e32 v[5:6], v7
	s_or_b64 vcc, s[0:1], vcc
	v_addc_co_u32_e32 v7, vcc, 0, v10, vcc
	v_mul_f64 v[5:6], v[5:6], s[2:3]
	v_cmp_gt_i32_e32 vcc, 31, v8
	v_cndmask_b32_e32 v7, v0, v7, vcc
	v_cmp_ne_u32_e32 vcc, 0, v1
	v_cndmask_b32_e64 v1, 0, 1, vcc
	v_lshl_or_b32 v1, v1, 9, v0
	v_cmp_eq_u32_e32 vcc, s10, v8
	v_cndmask_b32_e32 v1, v7, v1, vcc
	v_lshrrev_b32_e32 v2, 16, v2
	v_and_or_b32 v7, v2, s11, v1
	v_and_or_b32 v1, v6, s6, v5
	v_cmp_ne_u32_e32 vcc, 0, v1
	v_cndmask_b32_e64 v1, 0, 1, vcc
	v_lshrrev_b32_e32 v2, 8, v6
	v_bfe_u32 v5, v6, 20, 11
	v_and_or_b32 v1, v2, s7, v1
	v_sub_u32_e32 v8, 0x3f1, v5
	v_or_b32_e32 v2, 0x1000, v1
	v_med3_i32 v8, v8, 0, 13
	v_lshrrev_b32_e32 v10, v8, v2
	v_lshlrev_b32_e32 v8, v8, v10
	v_cmp_ne_u32_e32 vcc, v8, v2
	v_cndmask_b32_e64 v2, 0, 1, vcc
	v_add_u32_e32 v5, 0xfffffc10, v5
	v_or_b32_e32 v2, v10, v2
	v_lshl_or_b32 v8, v5, 12, v1
	v_cmp_gt_i32_e32 vcc, 1, v5
	v_cndmask_b32_e32 v2, v8, v2, vcc
	v_and_b32_e32 v8, 7, v2
	v_cmp_lt_i32_e32 vcc, 5, v8
	v_cmp_eq_u32_e64 s[0:1], 3, v8
	v_lshrrev_b32_e32 v8, 16, v9
	v_lshrrev_b32_e32 v2, 2, v2
	s_or_b64 vcc, s[0:1], vcc
	v_mul_f16_sdwa v10, v52, v8 dst_sel:DWORD dst_unused:UNUSED_PAD src0_sel:WORD_1 src1_sel:DWORD
	v_addc_co_u32_e32 v2, vcc, 0, v2, vcc
	v_fma_f16 v10, v52, v9, v10
	v_cmp_gt_i32_e32 vcc, 31, v5
	v_cvt_f32_f16_e32 v10, v10
	v_cndmask_b32_e32 v2, v0, v2, vcc
	v_cmp_ne_u32_e32 vcc, 0, v1
	v_cndmask_b32_e64 v1, 0, 1, vcc
	v_lshl_or_b32 v1, v1, 9, v0
	v_cmp_eq_u32_e32 vcc, s10, v5
	v_cndmask_b32_e32 v5, v2, v1, vcc
	v_cvt_f64_f32_e32 v[1:2], v10
	v_lshrrev_b32_e32 v6, 16, v6
	v_and_or_b32 v5, v6, s11, v5
	v_and_b32_e32 v6, 0xffff, v7
	v_mul_f64 v[1:2], v[1:2], s[2:3]
	v_lshl_or_b32 v5, v5, 16, v6
	v_mov_b32_e32 v6, s4
	v_add_co_u32_e32 v3, vcc, s5, v3
	v_addc_co_u32_e32 v4, vcc, v4, v6, vcc
	global_store_dword v[3:4], v5, off
	v_and_or_b32 v1, v2, s6, v1
	v_cmp_ne_u32_e32 vcc, 0, v1
	v_cndmask_b32_e64 v1, 0, 1, vcc
	v_lshrrev_b32_e32 v5, 8, v2
	v_bfe_u32 v6, v2, 20, 11
	v_and_or_b32 v1, v5, s7, v1
	v_sub_u32_e32 v7, 0x3f1, v6
	v_or_b32_e32 v5, 0x1000, v1
	v_med3_i32 v7, v7, 0, 13
	v_lshrrev_b32_e32 v10, v7, v5
	v_lshlrev_b32_e32 v7, v7, v10
	v_mul_f16_sdwa v9, v52, v9 dst_sel:DWORD dst_unused:UNUSED_PAD src0_sel:WORD_1 src1_sel:DWORD
	v_cmp_ne_u32_e32 vcc, v7, v5
	v_fma_f16 v8, v52, v8, -v9
	v_cndmask_b32_e64 v5, 0, 1, vcc
	v_add_u32_e32 v7, 0xfffffc10, v6
	v_cvt_f32_f16_e32 v8, v8
	v_or_b32_e32 v5, v10, v5
	v_lshl_or_b32 v6, v7, 12, v1
	v_cmp_gt_i32_e32 vcc, 1, v7
	v_cndmask_b32_e32 v5, v6, v5, vcc
	v_and_b32_e32 v6, 7, v5
	v_cmp_lt_i32_e32 vcc, 5, v6
	v_cmp_eq_u32_e64 s[0:1], 3, v6
	v_lshrrev_b32_e32 v9, 2, v5
	v_cvt_f64_f32_e32 v[5:6], v8
	s_or_b64 vcc, s[0:1], vcc
	v_addc_co_u32_e32 v8, vcc, 0, v9, vcc
	v_mul_f64 v[5:6], v[5:6], s[2:3]
	v_cmp_gt_i32_e32 vcc, 31, v7
	v_cndmask_b32_e32 v8, v0, v8, vcc
	v_cmp_ne_u32_e32 vcc, 0, v1
	v_cndmask_b32_e64 v1, 0, 1, vcc
	v_lshl_or_b32 v1, v1, 9, v0
	v_cmp_eq_u32_e32 vcc, s10, v7
	v_cndmask_b32_e32 v1, v8, v1, vcc
	v_lshrrev_b32_e32 v2, 16, v2
	v_and_or_b32 v7, v2, s11, v1
	v_and_or_b32 v1, v6, s6, v5
	v_cmp_ne_u32_e32 vcc, 0, v1
	v_cndmask_b32_e64 v1, 0, 1, vcc
	v_lshrrev_b32_e32 v2, 8, v6
	v_bfe_u32 v5, v6, 20, 11
	v_and_or_b32 v1, v2, s7, v1
	v_sub_u32_e32 v8, 0x3f1, v5
	v_or_b32_e32 v2, 0x1000, v1
	v_med3_i32 v8, v8, 0, 13
	v_lshrrev_b32_e32 v9, v8, v2
	v_lshlrev_b32_e32 v8, v8, v9
	v_cmp_ne_u32_e32 vcc, v8, v2
	v_cndmask_b32_e64 v2, 0, 1, vcc
	v_add_u32_e32 v5, 0xfffffc10, v5
	v_or_b32_e32 v2, v9, v2
	v_lshl_or_b32 v8, v5, 12, v1
	v_cmp_gt_i32_e32 vcc, 1, v5
	v_cndmask_b32_e32 v2, v8, v2, vcc
	v_and_b32_e32 v8, 7, v2
	v_cmp_lt_i32_e32 vcc, 5, v8
	v_cmp_eq_u32_e64 s[0:1], 3, v8
	v_lshrrev_b32_e32 v8, 16, v11
	v_lshrrev_b32_e32 v2, 2, v2
	s_or_b64 vcc, s[0:1], vcc
	v_mul_f16_sdwa v9, v50, v8 dst_sel:DWORD dst_unused:UNUSED_PAD src0_sel:WORD_1 src1_sel:DWORD
	v_addc_co_u32_e32 v2, vcc, 0, v2, vcc
	v_fma_f16 v9, v50, v11, v9
	v_cmp_gt_i32_e32 vcc, 31, v5
	v_cvt_f32_f16_e32 v9, v9
	v_cndmask_b32_e32 v2, v0, v2, vcc
	v_cmp_ne_u32_e32 vcc, 0, v1
	v_cndmask_b32_e64 v1, 0, 1, vcc
	v_lshl_or_b32 v1, v1, 9, v0
	v_cmp_eq_u32_e32 vcc, s10, v5
	v_cndmask_b32_e32 v5, v2, v1, vcc
	v_cvt_f64_f32_e32 v[1:2], v9
	v_lshrrev_b32_e32 v6, 16, v6
	v_and_or_b32 v5, v6, s11, v5
	v_and_b32_e32 v6, 0xffff, v7
	v_mul_f64 v[1:2], v[1:2], s[2:3]
	v_lshl_or_b32 v5, v5, 16, v6
	v_mov_b32_e32 v6, s4
	v_add_co_u32_e32 v3, vcc, s5, v3
	v_addc_co_u32_e32 v4, vcc, v4, v6, vcc
	global_store_dword v[3:4], v5, off
	v_and_or_b32 v1, v2, s6, v1
	v_cmp_ne_u32_e32 vcc, 0, v1
	v_cndmask_b32_e64 v1, 0, 1, vcc
	v_lshrrev_b32_e32 v5, 8, v2
	v_bfe_u32 v6, v2, 20, 11
	v_and_or_b32 v1, v5, s7, v1
	v_sub_u32_e32 v7, 0x3f1, v6
	v_or_b32_e32 v5, 0x1000, v1
	v_med3_i32 v7, v7, 0, 13
	v_lshrrev_b32_e32 v9, v7, v5
	v_lshlrev_b32_e32 v7, v7, v9
	v_cmp_ne_u32_e32 vcc, v7, v5
	v_cndmask_b32_e64 v5, 0, 1, vcc
	v_or_b32_e32 v5, v9, v5
	v_mul_f16_sdwa v9, v50, v11 dst_sel:DWORD dst_unused:UNUSED_PAD src0_sel:WORD_1 src1_sel:DWORD
	v_fma_f16 v8, v50, v8, -v9
	v_add_u32_e32 v7, 0xfffffc10, v6
	v_cvt_f32_f16_e32 v8, v8
	v_lshl_or_b32 v6, v7, 12, v1
	v_cmp_gt_i32_e32 vcc, 1, v7
	v_cndmask_b32_e32 v5, v6, v5, vcc
	v_and_b32_e32 v6, 7, v5
	v_cmp_lt_i32_e32 vcc, 5, v6
	v_cmp_eq_u32_e64 s[0:1], 3, v6
	v_lshrrev_b32_e32 v9, 2, v5
	v_cvt_f64_f32_e32 v[5:6], v8
	s_or_b64 vcc, s[0:1], vcc
	v_addc_co_u32_e32 v8, vcc, 0, v9, vcc
	v_mul_f64 v[5:6], v[5:6], s[2:3]
	v_cmp_gt_i32_e32 vcc, 31, v7
	v_cndmask_b32_e32 v8, v0, v8, vcc
	v_cmp_ne_u32_e32 vcc, 0, v1
	v_cndmask_b32_e64 v1, 0, 1, vcc
	v_lshl_or_b32 v1, v1, 9, v0
	v_cmp_eq_u32_e32 vcc, s10, v7
	v_cndmask_b32_e32 v1, v8, v1, vcc
	v_lshrrev_b32_e32 v2, 16, v2
	v_and_or_b32 v7, v2, s11, v1
	v_and_or_b32 v1, v6, s6, v5
	v_cmp_ne_u32_e32 vcc, 0, v1
	v_cndmask_b32_e64 v1, 0, 1, vcc
	v_lshrrev_b32_e32 v2, 8, v6
	v_bfe_u32 v5, v6, 20, 11
	v_and_or_b32 v1, v2, s7, v1
	v_sub_u32_e32 v8, 0x3f1, v5
	v_or_b32_e32 v2, 0x1000, v1
	v_med3_i32 v8, v8, 0, 13
	v_lshrrev_b32_e32 v9, v8, v2
	v_lshlrev_b32_e32 v8, v8, v9
	v_cmp_ne_u32_e32 vcc, v8, v2
	v_cndmask_b32_e64 v2, 0, 1, vcc
	v_add_u32_e32 v5, 0xfffffc10, v5
	v_or_b32_e32 v2, v9, v2
	v_lshl_or_b32 v8, v5, 12, v1
	v_cmp_gt_i32_e32 vcc, 1, v5
	v_cndmask_b32_e32 v2, v8, v2, vcc
	v_and_b32_e32 v8, 7, v2
	v_cmp_lt_i32_e32 vcc, 5, v8
	v_cmp_eq_u32_e64 s[0:1], 3, v8
	v_lshrrev_b32_e32 v8, 16, v13
	v_lshrrev_b32_e32 v2, 2, v2
	s_or_b64 vcc, s[0:1], vcc
	v_mul_f16_sdwa v9, v51, v8 dst_sel:DWORD dst_unused:UNUSED_PAD src0_sel:WORD_1 src1_sel:DWORD
	v_addc_co_u32_e32 v2, vcc, 0, v2, vcc
	v_fma_f16 v9, v51, v13, v9
	v_cmp_gt_i32_e32 vcc, 31, v5
	v_cvt_f32_f16_e32 v9, v9
	v_cndmask_b32_e32 v2, v0, v2, vcc
	v_cmp_ne_u32_e32 vcc, 0, v1
	v_cndmask_b32_e64 v1, 0, 1, vcc
	v_lshl_or_b32 v1, v1, 9, v0
	v_cmp_eq_u32_e32 vcc, s10, v5
	v_cndmask_b32_e32 v5, v2, v1, vcc
	v_cvt_f64_f32_e32 v[1:2], v9
	v_lshrrev_b32_e32 v6, 16, v6
	v_and_or_b32 v5, v6, s11, v5
	v_and_b32_e32 v6, 0xffff, v7
	v_mul_f64 v[1:2], v[1:2], s[2:3]
	v_lshl_or_b32 v5, v5, 16, v6
	v_mov_b32_e32 v6, s4
	v_add_co_u32_e32 v3, vcc, s5, v3
	v_addc_co_u32_e32 v4, vcc, v4, v6, vcc
	global_store_dword v[3:4], v5, off
	v_and_or_b32 v1, v2, s6, v1
	v_cmp_ne_u32_e32 vcc, 0, v1
	v_cndmask_b32_e64 v1, 0, 1, vcc
	v_lshrrev_b32_e32 v5, 8, v2
	v_bfe_u32 v6, v2, 20, 11
	v_and_or_b32 v1, v5, s7, v1
	v_sub_u32_e32 v7, 0x3f1, v6
	v_or_b32_e32 v5, 0x1000, v1
	v_med3_i32 v7, v7, 0, 13
	v_lshrrev_b32_e32 v9, v7, v5
	v_lshlrev_b32_e32 v7, v7, v9
	v_cmp_ne_u32_e32 vcc, v7, v5
	v_cndmask_b32_e64 v5, 0, 1, vcc
	v_or_b32_e32 v5, v9, v5
	v_mul_f16_sdwa v9, v51, v13 dst_sel:DWORD dst_unused:UNUSED_PAD src0_sel:WORD_1 src1_sel:DWORD
	v_fma_f16 v8, v51, v8, -v9
	v_add_u32_e32 v7, 0xfffffc10, v6
	v_cvt_f32_f16_e32 v8, v8
	v_lshl_or_b32 v6, v7, 12, v1
	v_cmp_gt_i32_e32 vcc, 1, v7
	v_cndmask_b32_e32 v5, v6, v5, vcc
	v_and_b32_e32 v6, 7, v5
	v_cmp_lt_i32_e32 vcc, 5, v6
	v_cmp_eq_u32_e64 s[0:1], 3, v6
	v_lshrrev_b32_e32 v9, 2, v5
	v_cvt_f64_f32_e32 v[5:6], v8
	s_or_b64 vcc, s[0:1], vcc
	v_addc_co_u32_e32 v8, vcc, 0, v9, vcc
	v_mul_f64 v[5:6], v[5:6], s[2:3]
	v_cmp_gt_i32_e32 vcc, 31, v7
	v_cndmask_b32_e32 v8, v0, v8, vcc
	v_cmp_ne_u32_e32 vcc, 0, v1
	v_cndmask_b32_e64 v1, 0, 1, vcc
	v_lshl_or_b32 v1, v1, 9, v0
	v_cmp_eq_u32_e32 vcc, s10, v7
	v_cndmask_b32_e32 v1, v8, v1, vcc
	v_lshrrev_b32_e32 v2, 16, v2
	v_and_or_b32 v7, v2, s11, v1
	v_and_or_b32 v1, v6, s6, v5
	v_cmp_ne_u32_e32 vcc, 0, v1
	v_cndmask_b32_e64 v1, 0, 1, vcc
	v_lshrrev_b32_e32 v2, 8, v6
	v_bfe_u32 v5, v6, 20, 11
	v_and_or_b32 v1, v2, s7, v1
	v_sub_u32_e32 v8, 0x3f1, v5
	v_or_b32_e32 v2, 0x1000, v1
	v_med3_i32 v8, v8, 0, 13
	v_lshrrev_b32_e32 v9, v8, v2
	v_lshlrev_b32_e32 v8, v8, v9
	v_cmp_ne_u32_e32 vcc, v8, v2
	v_cndmask_b32_e64 v2, 0, 1, vcc
	v_add_u32_e32 v5, 0xfffffc10, v5
	v_or_b32_e32 v2, v9, v2
	v_lshl_or_b32 v8, v5, 12, v1
	v_cmp_gt_i32_e32 vcc, 1, v5
	v_cndmask_b32_e32 v2, v8, v2, vcc
	v_and_b32_e32 v8, 7, v2
	v_cmp_lt_i32_e32 vcc, 5, v8
	v_cmp_eq_u32_e64 s[0:1], 3, v8
	v_lshrrev_b32_e32 v8, 16, v15
	v_lshrrev_b32_e32 v2, 2, v2
	s_or_b64 vcc, s[0:1], vcc
	v_mul_f16_sdwa v9, v49, v8 dst_sel:DWORD dst_unused:UNUSED_PAD src0_sel:WORD_1 src1_sel:DWORD
	v_addc_co_u32_e32 v2, vcc, 0, v2, vcc
	v_fma_f16 v9, v49, v15, v9
	v_cmp_gt_i32_e32 vcc, 31, v5
	v_cvt_f32_f16_e32 v9, v9
	v_cndmask_b32_e32 v2, v0, v2, vcc
	v_cmp_ne_u32_e32 vcc, 0, v1
	v_cndmask_b32_e64 v1, 0, 1, vcc
	v_lshl_or_b32 v1, v1, 9, v0
	v_cmp_eq_u32_e32 vcc, s10, v5
	v_cndmask_b32_e32 v5, v2, v1, vcc
	v_cvt_f64_f32_e32 v[1:2], v9
	v_lshrrev_b32_e32 v6, 16, v6
	v_and_or_b32 v5, v6, s11, v5
	v_and_b32_e32 v6, 0xffff, v7
	v_mul_f64 v[1:2], v[1:2], s[2:3]
	v_lshl_or_b32 v5, v5, 16, v6
	v_mov_b32_e32 v6, s4
	v_add_co_u32_e32 v3, vcc, s5, v3
	v_addc_co_u32_e32 v4, vcc, v4, v6, vcc
	global_store_dword v[3:4], v5, off
	v_and_or_b32 v1, v2, s6, v1
	v_cmp_ne_u32_e32 vcc, 0, v1
	v_cndmask_b32_e64 v1, 0, 1, vcc
	v_lshrrev_b32_e32 v5, 8, v2
	v_bfe_u32 v6, v2, 20, 11
	v_and_or_b32 v1, v5, s7, v1
	v_sub_u32_e32 v7, 0x3f1, v6
	v_or_b32_e32 v5, 0x1000, v1
	v_med3_i32 v7, v7, 0, 13
	v_lshrrev_b32_e32 v9, v7, v5
	v_lshlrev_b32_e32 v7, v7, v9
	v_cmp_ne_u32_e32 vcc, v7, v5
	v_cndmask_b32_e64 v5, 0, 1, vcc
	v_or_b32_e32 v5, v9, v5
	v_mul_f16_sdwa v9, v49, v15 dst_sel:DWORD dst_unused:UNUSED_PAD src0_sel:WORD_1 src1_sel:DWORD
	v_fma_f16 v8, v49, v8, -v9
	v_add_u32_e32 v7, 0xfffffc10, v6
	v_cvt_f32_f16_e32 v8, v8
	v_lshl_or_b32 v6, v7, 12, v1
	v_cmp_gt_i32_e32 vcc, 1, v7
	v_cndmask_b32_e32 v5, v6, v5, vcc
	v_and_b32_e32 v6, 7, v5
	v_cmp_lt_i32_e32 vcc, 5, v6
	v_cmp_eq_u32_e64 s[0:1], 3, v6
	v_lshrrev_b32_e32 v9, 2, v5
	v_cvt_f64_f32_e32 v[5:6], v8
	s_or_b64 vcc, s[0:1], vcc
	v_addc_co_u32_e32 v8, vcc, 0, v9, vcc
	v_mul_f64 v[5:6], v[5:6], s[2:3]
	v_cmp_gt_i32_e32 vcc, 31, v7
	v_cndmask_b32_e32 v8, v0, v8, vcc
	v_cmp_ne_u32_e32 vcc, 0, v1
	v_cndmask_b32_e64 v1, 0, 1, vcc
	v_lshl_or_b32 v1, v1, 9, v0
	v_cmp_eq_u32_e32 vcc, s10, v7
	v_cndmask_b32_e32 v1, v8, v1, vcc
	v_lshrrev_b32_e32 v2, 16, v2
	v_and_or_b32 v7, v2, s11, v1
	v_and_or_b32 v1, v6, s6, v5
	v_cmp_ne_u32_e32 vcc, 0, v1
	v_cndmask_b32_e64 v1, 0, 1, vcc
	v_lshrrev_b32_e32 v2, 8, v6
	v_bfe_u32 v5, v6, 20, 11
	v_and_or_b32 v1, v2, s7, v1
	v_sub_u32_e32 v8, 0x3f1, v5
	v_or_b32_e32 v2, 0x1000, v1
	v_med3_i32 v8, v8, 0, 13
	v_lshrrev_b32_e32 v9, v8, v2
	v_lshlrev_b32_e32 v8, v8, v9
	v_cmp_ne_u32_e32 vcc, v8, v2
	v_cndmask_b32_e64 v2, 0, 1, vcc
	v_add_u32_e32 v5, 0xfffffc10, v5
	v_or_b32_e32 v2, v9, v2
	v_lshl_or_b32 v8, v5, 12, v1
	v_cmp_gt_i32_e32 vcc, 1, v5
	v_cndmask_b32_e32 v2, v8, v2, vcc
	v_and_b32_e32 v8, 7, v2
	v_cmp_lt_i32_e32 vcc, 5, v8
	v_cmp_eq_u32_e64 s[0:1], 3, v8
	v_lshrrev_b32_e32 v8, 16, v17
	v_lshrrev_b32_e32 v2, 2, v2
	s_or_b64 vcc, s[0:1], vcc
	v_mul_f16_sdwa v9, v48, v8 dst_sel:DWORD dst_unused:UNUSED_PAD src0_sel:WORD_1 src1_sel:DWORD
	v_addc_co_u32_e32 v2, vcc, 0, v2, vcc
	v_fma_f16 v9, v48, v17, v9
	v_cmp_gt_i32_e32 vcc, 31, v5
	v_cvt_f32_f16_e32 v9, v9
	v_cndmask_b32_e32 v2, v0, v2, vcc
	v_cmp_ne_u32_e32 vcc, 0, v1
	v_cndmask_b32_e64 v1, 0, 1, vcc
	v_lshl_or_b32 v1, v1, 9, v0
	v_cmp_eq_u32_e32 vcc, s10, v5
	v_cndmask_b32_e32 v5, v2, v1, vcc
	v_cvt_f64_f32_e32 v[1:2], v9
	v_lshrrev_b32_e32 v6, 16, v6
	v_and_or_b32 v5, v6, s11, v5
	v_and_b32_e32 v6, 0xffff, v7
	v_mul_f64 v[1:2], v[1:2], s[2:3]
	v_lshl_or_b32 v5, v5, 16, v6
	v_mov_b32_e32 v6, s4
	v_add_co_u32_e32 v3, vcc, s5, v3
	v_addc_co_u32_e32 v4, vcc, v4, v6, vcc
	global_store_dword v[3:4], v5, off
	v_and_or_b32 v1, v2, s6, v1
	v_cmp_ne_u32_e32 vcc, 0, v1
	v_cndmask_b32_e64 v1, 0, 1, vcc
	v_lshrrev_b32_e32 v5, 8, v2
	v_bfe_u32 v6, v2, 20, 11
	v_and_or_b32 v1, v5, s7, v1
	v_sub_u32_e32 v7, 0x3f1, v6
	v_or_b32_e32 v5, 0x1000, v1
	v_med3_i32 v7, v7, 0, 13
	v_lshrrev_b32_e32 v9, v7, v5
	v_lshlrev_b32_e32 v7, v7, v9
	v_cmp_ne_u32_e32 vcc, v7, v5
	v_cndmask_b32_e64 v5, 0, 1, vcc
	v_or_b32_e32 v5, v9, v5
	v_mul_f16_sdwa v9, v48, v17 dst_sel:DWORD dst_unused:UNUSED_PAD src0_sel:WORD_1 src1_sel:DWORD
	v_fma_f16 v8, v48, v8, -v9
	v_add_u32_e32 v7, 0xfffffc10, v6
	v_cvt_f32_f16_e32 v8, v8
	v_lshl_or_b32 v6, v7, 12, v1
	v_cmp_gt_i32_e32 vcc, 1, v7
	v_cndmask_b32_e32 v5, v6, v5, vcc
	v_and_b32_e32 v6, 7, v5
	v_cmp_lt_i32_e32 vcc, 5, v6
	v_cmp_eq_u32_e64 s[0:1], 3, v6
	v_lshrrev_b32_e32 v9, 2, v5
	v_cvt_f64_f32_e32 v[5:6], v8
	s_or_b64 vcc, s[0:1], vcc
	v_addc_co_u32_e32 v8, vcc, 0, v9, vcc
	v_mul_f64 v[5:6], v[5:6], s[2:3]
	v_cmp_gt_i32_e32 vcc, 31, v7
	v_cndmask_b32_e32 v8, v0, v8, vcc
	v_cmp_ne_u32_e32 vcc, 0, v1
	v_cndmask_b32_e64 v1, 0, 1, vcc
	v_lshl_or_b32 v1, v1, 9, v0
	v_cmp_eq_u32_e32 vcc, s10, v7
	v_cndmask_b32_e32 v1, v8, v1, vcc
	v_lshrrev_b32_e32 v2, 16, v2
	v_and_or_b32 v7, v2, s11, v1
	v_and_or_b32 v1, v6, s6, v5
	v_cmp_ne_u32_e32 vcc, 0, v1
	v_cndmask_b32_e64 v1, 0, 1, vcc
	v_lshrrev_b32_e32 v2, 8, v6
	v_bfe_u32 v5, v6, 20, 11
	v_and_or_b32 v1, v2, s7, v1
	v_sub_u32_e32 v8, 0x3f1, v5
	v_or_b32_e32 v2, 0x1000, v1
	v_med3_i32 v8, v8, 0, 13
	v_lshrrev_b32_e32 v9, v8, v2
	v_lshlrev_b32_e32 v8, v8, v9
	v_cmp_ne_u32_e32 vcc, v8, v2
	v_cndmask_b32_e64 v2, 0, 1, vcc
	v_add_u32_e32 v5, 0xfffffc10, v5
	v_or_b32_e32 v2, v9, v2
	v_lshl_or_b32 v8, v5, 12, v1
	v_cmp_gt_i32_e32 vcc, 1, v5
	v_cndmask_b32_e32 v2, v8, v2, vcc
	v_and_b32_e32 v8, 7, v2
	v_cmp_lt_i32_e32 vcc, 5, v8
	v_cmp_eq_u32_e64 s[0:1], 3, v8
	v_lshrrev_b32_e32 v8, 16, v19
	v_lshrrev_b32_e32 v2, 2, v2
	s_or_b64 vcc, s[0:1], vcc
	v_mul_f16_sdwa v9, v47, v8 dst_sel:DWORD dst_unused:UNUSED_PAD src0_sel:WORD_1 src1_sel:DWORD
	v_addc_co_u32_e32 v2, vcc, 0, v2, vcc
	v_fma_f16 v9, v47, v19, v9
	v_cmp_gt_i32_e32 vcc, 31, v5
	v_cvt_f32_f16_e32 v9, v9
	v_cndmask_b32_e32 v2, v0, v2, vcc
	v_cmp_ne_u32_e32 vcc, 0, v1
	v_cndmask_b32_e64 v1, 0, 1, vcc
	v_lshl_or_b32 v1, v1, 9, v0
	v_cmp_eq_u32_e32 vcc, s10, v5
	v_cndmask_b32_e32 v5, v2, v1, vcc
	v_cvt_f64_f32_e32 v[1:2], v9
	v_lshrrev_b32_e32 v6, 16, v6
	v_and_or_b32 v5, v6, s11, v5
	v_and_b32_e32 v6, 0xffff, v7
	v_mul_f64 v[1:2], v[1:2], s[2:3]
	v_lshl_or_b32 v5, v5, 16, v6
	v_mov_b32_e32 v6, s4
	v_add_co_u32_e32 v3, vcc, s5, v3
	v_addc_co_u32_e32 v4, vcc, v4, v6, vcc
	global_store_dword v[3:4], v5, off
	v_and_or_b32 v1, v2, s6, v1
	v_cmp_ne_u32_e32 vcc, 0, v1
	v_cndmask_b32_e64 v1, 0, 1, vcc
	v_lshrrev_b32_e32 v5, 8, v2
	v_bfe_u32 v6, v2, 20, 11
	v_and_or_b32 v1, v5, s7, v1
	v_sub_u32_e32 v7, 0x3f1, v6
	v_or_b32_e32 v5, 0x1000, v1
	v_med3_i32 v7, v7, 0, 13
	v_lshrrev_b32_e32 v9, v7, v5
	v_lshlrev_b32_e32 v7, v7, v9
	v_cmp_ne_u32_e32 vcc, v7, v5
	v_cndmask_b32_e64 v5, 0, 1, vcc
	v_or_b32_e32 v5, v9, v5
	v_mul_f16_sdwa v9, v47, v19 dst_sel:DWORD dst_unused:UNUSED_PAD src0_sel:WORD_1 src1_sel:DWORD
	v_fma_f16 v8, v47, v8, -v9
	v_add_u32_e32 v7, 0xfffffc10, v6
	v_cvt_f32_f16_e32 v8, v8
	v_lshl_or_b32 v6, v7, 12, v1
	v_cmp_gt_i32_e32 vcc, 1, v7
	v_cndmask_b32_e32 v5, v6, v5, vcc
	v_and_b32_e32 v6, 7, v5
	v_cmp_lt_i32_e32 vcc, 5, v6
	v_cmp_eq_u32_e64 s[0:1], 3, v6
	v_lshrrev_b32_e32 v9, 2, v5
	v_cvt_f64_f32_e32 v[5:6], v8
	s_or_b64 vcc, s[0:1], vcc
	v_addc_co_u32_e32 v8, vcc, 0, v9, vcc
	v_mul_f64 v[5:6], v[5:6], s[2:3]
	v_cmp_gt_i32_e32 vcc, 31, v7
	v_cndmask_b32_e32 v8, v0, v8, vcc
	v_cmp_ne_u32_e32 vcc, 0, v1
	v_cndmask_b32_e64 v1, 0, 1, vcc
	v_lshl_or_b32 v1, v1, 9, v0
	v_cmp_eq_u32_e32 vcc, s10, v7
	v_cndmask_b32_e32 v1, v8, v1, vcc
	v_lshrrev_b32_e32 v2, 16, v2
	v_and_or_b32 v1, v2, s11, v1
	v_and_or_b32 v2, v6, s6, v5
	v_cmp_ne_u32_e32 vcc, 0, v2
	v_cndmask_b32_e64 v2, 0, 1, vcc
	v_lshrrev_b32_e32 v5, 8, v6
	v_bfe_u32 v7, v6, 20, 11
	v_and_or_b32 v2, v5, s7, v2
	v_sub_u32_e32 v8, 0x3f1, v7
	v_or_b32_e32 v5, 0x1000, v2
	v_med3_i32 v8, v8, 0, 13
	v_lshrrev_b32_e32 v9, v8, v5
	v_lshlrev_b32_e32 v8, v8, v9
	v_cmp_ne_u32_e32 vcc, v8, v5
	v_cndmask_b32_e64 v5, 0, 1, vcc
	v_add_u32_e32 v7, 0xfffffc10, v7
	v_or_b32_e32 v5, v9, v5
	v_lshl_or_b32 v8, v7, 12, v2
	v_cmp_gt_i32_e32 vcc, 1, v7
	v_cndmask_b32_e32 v5, v8, v5, vcc
	v_and_b32_e32 v8, 7, v5
	v_cmp_lt_i32_e32 vcc, 5, v8
	v_cmp_eq_u32_e64 s[0:1], 3, v8
	v_lshrrev_b32_e32 v5, 2, v5
	s_or_b64 vcc, s[0:1], vcc
	v_addc_co_u32_e32 v5, vcc, 0, v5, vcc
	v_cmp_gt_i32_e32 vcc, 31, v7
	v_cndmask_b32_e32 v5, v0, v5, vcc
	v_cmp_ne_u32_e32 vcc, 0, v2
	v_cndmask_b32_e64 v2, 0, 1, vcc
	v_lshl_or_b32 v0, v2, 9, v0
	v_cmp_eq_u32_e32 vcc, s10, v7
	v_cndmask_b32_e32 v0, v5, v0, vcc
	v_lshrrev_b32_e32 v2, 16, v6
	v_and_or_b32 v0, v2, s11, v0
	v_and_b32_e32 v1, 0xffff, v1
	v_lshl_or_b32 v2, v0, 16, v1
	v_mov_b32_e32 v1, s4
	v_add_co_u32_e32 v0, vcc, s5, v3
	v_addc_co_u32_e32 v1, vcc, v4, v1, vcc
	global_store_dword v[0:1], v2, off
.LBB0_2:
	s_endpgm
	.section	.rodata,"a",@progbits
	.p2align	6, 0x0
	.amdhsa_kernel bluestein_single_fwd_len3200_dim1_half_op_CI_CI
		.amdhsa_group_segment_fixed_size 12800
		.amdhsa_private_segment_fixed_size 0
		.amdhsa_kernarg_size 104
		.amdhsa_user_sgpr_count 6
		.amdhsa_user_sgpr_private_segment_buffer 1
		.amdhsa_user_sgpr_dispatch_ptr 0
		.amdhsa_user_sgpr_queue_ptr 0
		.amdhsa_user_sgpr_kernarg_segment_ptr 1
		.amdhsa_user_sgpr_dispatch_id 0
		.amdhsa_user_sgpr_flat_scratch_init 0
		.amdhsa_user_sgpr_private_segment_size 0
		.amdhsa_uses_dynamic_stack 0
		.amdhsa_system_sgpr_private_segment_wavefront_offset 0
		.amdhsa_system_sgpr_workgroup_id_x 1
		.amdhsa_system_sgpr_workgroup_id_y 0
		.amdhsa_system_sgpr_workgroup_id_z 0
		.amdhsa_system_sgpr_workgroup_info 0
		.amdhsa_system_vgpr_workitem_id 0
		.amdhsa_next_free_vgpr 166
		.amdhsa_next_free_sgpr 24
		.amdhsa_reserve_vcc 1
		.amdhsa_reserve_flat_scratch 0
		.amdhsa_float_round_mode_32 0
		.amdhsa_float_round_mode_16_64 0
		.amdhsa_float_denorm_mode_32 3
		.amdhsa_float_denorm_mode_16_64 3
		.amdhsa_dx10_clamp 1
		.amdhsa_ieee_mode 1
		.amdhsa_fp16_overflow 0
		.amdhsa_exception_fp_ieee_invalid_op 0
		.amdhsa_exception_fp_denorm_src 0
		.amdhsa_exception_fp_ieee_div_zero 0
		.amdhsa_exception_fp_ieee_overflow 0
		.amdhsa_exception_fp_ieee_underflow 0
		.amdhsa_exception_fp_ieee_inexact 0
		.amdhsa_exception_int_div_zero 0
	.end_amdhsa_kernel
	.text
.Lfunc_end0:
	.size	bluestein_single_fwd_len3200_dim1_half_op_CI_CI, .Lfunc_end0-bluestein_single_fwd_len3200_dim1_half_op_CI_CI
                                        ; -- End function
	.section	.AMDGPU.csdata,"",@progbits
; Kernel info:
; codeLenInByte = 32060
; NumSgprs: 28
; NumVgprs: 166
; ScratchSize: 0
; MemoryBound: 0
; FloatMode: 240
; IeeeMode: 1
; LDSByteSize: 12800 bytes/workgroup (compile time only)
; SGPRBlocks: 3
; VGPRBlocks: 41
; NumSGPRsForWavesPerEU: 28
; NumVGPRsForWavesPerEU: 166
; Occupancy: 1
; WaveLimiterHint : 1
; COMPUTE_PGM_RSRC2:SCRATCH_EN: 0
; COMPUTE_PGM_RSRC2:USER_SGPR: 6
; COMPUTE_PGM_RSRC2:TRAP_HANDLER: 0
; COMPUTE_PGM_RSRC2:TGID_X_EN: 1
; COMPUTE_PGM_RSRC2:TGID_Y_EN: 0
; COMPUTE_PGM_RSRC2:TGID_Z_EN: 0
; COMPUTE_PGM_RSRC2:TIDIG_COMP_CNT: 0
	.type	__hip_cuid_6e186a2b1823bd93,@object ; @__hip_cuid_6e186a2b1823bd93
	.section	.bss,"aw",@nobits
	.globl	__hip_cuid_6e186a2b1823bd93
__hip_cuid_6e186a2b1823bd93:
	.byte	0                               ; 0x0
	.size	__hip_cuid_6e186a2b1823bd93, 1

	.ident	"AMD clang version 19.0.0git (https://github.com/RadeonOpenCompute/llvm-project roc-6.4.0 25133 c7fe45cf4b819c5991fe208aaa96edf142730f1d)"
	.section	".note.GNU-stack","",@progbits
	.addrsig
	.addrsig_sym __hip_cuid_6e186a2b1823bd93
	.amdgpu_metadata
---
amdhsa.kernels:
  - .args:
      - .actual_access:  read_only
        .address_space:  global
        .offset:         0
        .size:           8
        .value_kind:     global_buffer
      - .actual_access:  read_only
        .address_space:  global
        .offset:         8
        .size:           8
        .value_kind:     global_buffer
      - .actual_access:  read_only
        .address_space:  global
        .offset:         16
        .size:           8
        .value_kind:     global_buffer
      - .actual_access:  read_only
        .address_space:  global
        .offset:         24
        .size:           8
        .value_kind:     global_buffer
      - .actual_access:  read_only
        .address_space:  global
        .offset:         32
        .size:           8
        .value_kind:     global_buffer
      - .offset:         40
        .size:           8
        .value_kind:     by_value
      - .address_space:  global
        .offset:         48
        .size:           8
        .value_kind:     global_buffer
      - .address_space:  global
        .offset:         56
        .size:           8
        .value_kind:     global_buffer
      - .address_space:  global
        .offset:         64
        .size:           8
        .value_kind:     global_buffer
      - .address_space:  global
        .offset:         72
        .size:           8
        .value_kind:     global_buffer
      - .offset:         80
        .size:           4
        .value_kind:     by_value
      - .address_space:  global
        .offset:         88
        .size:           8
        .value_kind:     global_buffer
      - .address_space:  global
        .offset:         96
        .size:           8
        .value_kind:     global_buffer
    .group_segment_fixed_size: 12800
    .kernarg_segment_align: 8
    .kernarg_segment_size: 104
    .language:       OpenCL C
    .language_version:
      - 2
      - 0
    .max_flat_workgroup_size: 160
    .name:           bluestein_single_fwd_len3200_dim1_half_op_CI_CI
    .private_segment_fixed_size: 0
    .sgpr_count:     28
    .sgpr_spill_count: 0
    .symbol:         bluestein_single_fwd_len3200_dim1_half_op_CI_CI.kd
    .uniform_work_group_size: 1
    .uses_dynamic_stack: false
    .vgpr_count:     166
    .vgpr_spill_count: 0
    .wavefront_size: 64
amdhsa.target:   amdgcn-amd-amdhsa--gfx906
amdhsa.version:
  - 1
  - 2
...

	.end_amdgpu_metadata
